;; amdgpu-corpus repo=ROCm/rocFFT kind=compiled arch=gfx950 opt=O3
	.text
	.amdgcn_target "amdgcn-amd-amdhsa--gfx950"
	.amdhsa_code_object_version 6
	.protected	fft_rtc_fwd_len1210_factors_2_5_11_11_wgs_110_tpt_110_halfLds_dp_ip_CI_sbrr_dirReg ; -- Begin function fft_rtc_fwd_len1210_factors_2_5_11_11_wgs_110_tpt_110_halfLds_dp_ip_CI_sbrr_dirReg
	.globl	fft_rtc_fwd_len1210_factors_2_5_11_11_wgs_110_tpt_110_halfLds_dp_ip_CI_sbrr_dirReg
	.p2align	8
	.type	fft_rtc_fwd_len1210_factors_2_5_11_11_wgs_110_tpt_110_halfLds_dp_ip_CI_sbrr_dirReg,@function
fft_rtc_fwd_len1210_factors_2_5_11_11_wgs_110_tpt_110_halfLds_dp_ip_CI_sbrr_dirReg: ; @fft_rtc_fwd_len1210_factors_2_5_11_11_wgs_110_tpt_110_halfLds_dp_ip_CI_sbrr_dirReg
; %bb.0:
	s_load_dwordx2 s[12:13], s[0:1], 0x18
	s_load_dwordx4 s[4:7], s[0:1], 0x0
	s_load_dwordx2 s[10:11], s[0:1], 0x50
	v_mul_u32_u24_e32 v1, 0x254, v0
	v_add_u32_sdwa v6, s2, v1 dst_sel:DWORD dst_unused:UNUSED_PAD src0_sel:DWORD src1_sel:WORD_1
	s_waitcnt lgkmcnt(0)
	s_load_dwordx2 s[8:9], s[12:13], 0x0
	v_mov_b32_e32 v4, 0
	v_cmp_lt_u64_e64 s[2:3], s[6:7], 2
	v_mov_b32_e32 v7, v4
	s_and_b64 vcc, exec, s[2:3]
	v_mov_b64_e32 v[2:3], 0
	s_cbranch_vccnz .LBB0_8
; %bb.1:
	s_load_dwordx2 s[2:3], s[0:1], 0x10
	s_add_u32 s14, s12, 8
	s_addc_u32 s15, s13, 0
	s_mov_b64 s[16:17], 1
	v_mov_b64_e32 v[2:3], 0
	s_waitcnt lgkmcnt(0)
	s_add_u32 s18, s2, 8
	s_addc_u32 s19, s3, 0
.LBB0_2:                                ; =>This Inner Loop Header: Depth=1
	s_load_dwordx2 s[20:21], s[18:19], 0x0
                                        ; implicit-def: $vgpr8_vgpr9
	s_waitcnt lgkmcnt(0)
	v_or_b32_e32 v5, s21, v7
	v_cmp_ne_u64_e32 vcc, 0, v[4:5]
	s_and_saveexec_b64 s[2:3], vcc
	s_xor_b64 s[22:23], exec, s[2:3]
	s_cbranch_execz .LBB0_4
; %bb.3:                                ;   in Loop: Header=BB0_2 Depth=1
	v_cvt_f32_u32_e32 v1, s20
	v_cvt_f32_u32_e32 v5, s21
	s_sub_u32 s2, 0, s20
	s_subb_u32 s3, 0, s21
	v_fmac_f32_e32 v1, 0x4f800000, v5
	v_rcp_f32_e32 v1, v1
	s_nop 0
	v_mul_f32_e32 v1, 0x5f7ffffc, v1
	v_mul_f32_e32 v5, 0x2f800000, v1
	v_trunc_f32_e32 v5, v5
	v_fmac_f32_e32 v1, 0xcf800000, v5
	v_cvt_u32_f32_e32 v5, v5
	v_cvt_u32_f32_e32 v1, v1
	v_mul_lo_u32 v8, s2, v5
	v_mul_hi_u32 v10, s2, v1
	v_mul_lo_u32 v9, s3, v1
	v_add_u32_e32 v10, v10, v8
	v_mul_lo_u32 v12, s2, v1
	v_add_u32_e32 v13, v10, v9
	v_mul_hi_u32 v8, v1, v12
	v_mul_hi_u32 v11, v1, v13
	v_mul_lo_u32 v10, v1, v13
	v_mov_b32_e32 v9, v4
	v_lshl_add_u64 v[8:9], v[8:9], 0, v[10:11]
	v_mul_hi_u32 v11, v5, v12
	v_mul_lo_u32 v12, v5, v12
	v_add_co_u32_e32 v8, vcc, v8, v12
	v_mul_hi_u32 v10, v5, v13
	s_nop 0
	v_addc_co_u32_e32 v8, vcc, v9, v11, vcc
	v_mov_b32_e32 v9, v4
	s_nop 0
	v_addc_co_u32_e32 v11, vcc, 0, v10, vcc
	v_mul_lo_u32 v10, v5, v13
	v_lshl_add_u64 v[8:9], v[8:9], 0, v[10:11]
	v_add_co_u32_e32 v1, vcc, v1, v8
	v_mul_lo_u32 v10, s2, v1
	s_nop 0
	v_addc_co_u32_e32 v5, vcc, v5, v9, vcc
	v_mul_lo_u32 v8, s2, v5
	v_mul_hi_u32 v9, s2, v1
	v_add_u32_e32 v8, v9, v8
	v_mul_lo_u32 v9, s3, v1
	v_add_u32_e32 v12, v8, v9
	v_mul_hi_u32 v14, v5, v10
	v_mul_lo_u32 v15, v5, v10
	v_mul_hi_u32 v9, v1, v12
	v_mul_lo_u32 v8, v1, v12
	v_mul_hi_u32 v10, v1, v10
	v_mov_b32_e32 v11, v4
	v_lshl_add_u64 v[8:9], v[10:11], 0, v[8:9]
	v_add_co_u32_e32 v8, vcc, v8, v15
	v_mul_hi_u32 v13, v5, v12
	s_nop 0
	v_addc_co_u32_e32 v8, vcc, v9, v14, vcc
	v_mul_lo_u32 v10, v5, v12
	s_nop 0
	v_addc_co_u32_e32 v11, vcc, 0, v13, vcc
	v_mov_b32_e32 v9, v4
	v_lshl_add_u64 v[8:9], v[8:9], 0, v[10:11]
	v_add_co_u32_e32 v1, vcc, v1, v8
	v_mul_hi_u32 v10, v6, v1
	s_nop 0
	v_addc_co_u32_e32 v5, vcc, v5, v9, vcc
	v_mad_u64_u32 v[8:9], s[2:3], v6, v5, 0
	v_mov_b32_e32 v11, v4
	v_lshl_add_u64 v[8:9], v[10:11], 0, v[8:9]
	v_mad_u64_u32 v[12:13], s[2:3], v7, v1, 0
	v_add_co_u32_e32 v1, vcc, v8, v12
	v_mad_u64_u32 v[10:11], s[2:3], v7, v5, 0
	s_nop 0
	v_addc_co_u32_e32 v8, vcc, v9, v13, vcc
	v_mov_b32_e32 v9, v4
	s_nop 0
	v_addc_co_u32_e32 v11, vcc, 0, v11, vcc
	v_lshl_add_u64 v[8:9], v[8:9], 0, v[10:11]
	v_mul_lo_u32 v1, s21, v8
	v_mul_lo_u32 v5, s20, v9
	v_mad_u64_u32 v[10:11], s[2:3], s20, v8, 0
	v_add3_u32 v1, v11, v5, v1
	v_sub_u32_e32 v5, v7, v1
	v_mov_b32_e32 v11, s21
	v_sub_co_u32_e32 v14, vcc, v6, v10
	v_lshl_add_u64 v[12:13], v[8:9], 0, 1
	s_nop 0
	v_subb_co_u32_e64 v5, s[2:3], v5, v11, vcc
	v_subrev_co_u32_e64 v10, s[2:3], s20, v14
	v_subb_co_u32_e32 v1, vcc, v7, v1, vcc
	s_nop 0
	v_subbrev_co_u32_e64 v5, s[2:3], 0, v5, s[2:3]
	v_cmp_le_u32_e64 s[2:3], s21, v5
	v_cmp_le_u32_e32 vcc, s21, v1
	s_nop 0
	v_cndmask_b32_e64 v11, 0, -1, s[2:3]
	v_cmp_le_u32_e64 s[2:3], s20, v10
	s_nop 1
	v_cndmask_b32_e64 v10, 0, -1, s[2:3]
	v_cmp_eq_u32_e64 s[2:3], s21, v5
	s_nop 1
	v_cndmask_b32_e64 v5, v11, v10, s[2:3]
	v_lshl_add_u64 v[10:11], v[8:9], 0, 2
	v_cmp_ne_u32_e64 s[2:3], 0, v5
	s_nop 1
	v_cndmask_b32_e64 v5, v13, v11, s[2:3]
	v_cndmask_b32_e64 v11, 0, -1, vcc
	v_cmp_le_u32_e32 vcc, s20, v14
	s_nop 1
	v_cndmask_b32_e64 v13, 0, -1, vcc
	v_cmp_eq_u32_e32 vcc, s21, v1
	s_nop 1
	v_cndmask_b32_e32 v1, v11, v13, vcc
	v_cmp_ne_u32_e32 vcc, 0, v1
	v_cndmask_b32_e64 v1, v12, v10, s[2:3]
	s_nop 0
	v_cndmask_b32_e32 v9, v9, v5, vcc
	v_cndmask_b32_e32 v8, v8, v1, vcc
.LBB0_4:                                ;   in Loop: Header=BB0_2 Depth=1
	s_andn2_saveexec_b64 s[2:3], s[22:23]
	s_cbranch_execz .LBB0_6
; %bb.5:                                ;   in Loop: Header=BB0_2 Depth=1
	v_cvt_f32_u32_e32 v1, s20
	s_sub_i32 s22, 0, s20
	v_rcp_iflag_f32_e32 v1, v1
	s_nop 0
	v_mul_f32_e32 v1, 0x4f7ffffe, v1
	v_cvt_u32_f32_e32 v1, v1
	v_mul_lo_u32 v5, s22, v1
	v_mul_hi_u32 v5, v1, v5
	v_add_u32_e32 v1, v1, v5
	v_mul_hi_u32 v1, v6, v1
	v_mul_lo_u32 v5, v1, s20
	v_sub_u32_e32 v5, v6, v5
	v_add_u32_e32 v8, 1, v1
	v_subrev_u32_e32 v9, s20, v5
	v_cmp_le_u32_e32 vcc, s20, v5
	s_nop 1
	v_cndmask_b32_e32 v5, v5, v9, vcc
	v_cndmask_b32_e32 v1, v1, v8, vcc
	v_add_u32_e32 v8, 1, v1
	v_cmp_le_u32_e32 vcc, s20, v5
	v_mov_b32_e32 v9, v4
	s_nop 0
	v_cndmask_b32_e32 v8, v1, v8, vcc
.LBB0_6:                                ;   in Loop: Header=BB0_2 Depth=1
	s_or_b64 exec, exec, s[2:3]
	v_mad_u64_u32 v[10:11], s[2:3], v8, s20, 0
	s_load_dwordx2 s[2:3], s[14:15], 0x0
	v_mul_lo_u32 v1, v9, s20
	v_mul_lo_u32 v5, v8, s21
	v_add3_u32 v1, v11, v5, v1
	v_sub_co_u32_e32 v5, vcc, v6, v10
	s_add_u32 s16, s16, 1
	s_nop 0
	v_subb_co_u32_e32 v1, vcc, v7, v1, vcc
	s_addc_u32 s17, s17, 0
	s_waitcnt lgkmcnt(0)
	v_mul_lo_u32 v1, s2, v1
	v_mul_lo_u32 v6, s3, v5
	v_mad_u64_u32 v[2:3], s[2:3], s2, v5, v[2:3]
	s_add_u32 s14, s14, 8
	v_add3_u32 v3, v6, v3, v1
	s_addc_u32 s15, s15, 0
	v_mov_b64_e32 v[6:7], s[6:7]
	s_add_u32 s18, s18, 8
	v_cmp_ge_u64_e32 vcc, s[16:17], v[6:7]
	s_addc_u32 s19, s19, 0
	s_cbranch_vccnz .LBB0_9
; %bb.7:                                ;   in Loop: Header=BB0_2 Depth=1
	v_mov_b64_e32 v[6:7], v[8:9]
	s_branch .LBB0_2
.LBB0_8:
	v_mov_b64_e32 v[8:9], v[6:7]
.LBB0_9:
	s_lshl_b64 s[2:3], s[6:7], 3
	s_add_u32 s2, s12, s2
	s_addc_u32 s3, s13, s3
	s_load_dwordx2 s[6:7], s[2:3], 0x0
	s_load_dwordx2 s[12:13], s[0:1], 0x20
	s_mov_b32 s2, 0x253c826
                                        ; implicit-def: $vgpr98
                                        ; implicit-def: $vgpr95
                                        ; implicit-def: $vgpr96
                                        ; implicit-def: $vgpr97
	s_waitcnt lgkmcnt(0)
	v_mul_lo_u32 v1, s6, v9
	v_mul_lo_u32 v4, s7, v8
	v_mad_u64_u32 v[2:3], s[0:1], s6, v8, v[2:3]
	v_add3_u32 v3, v4, v3, v1
	v_mul_hi_u32 v1, v0, s2
	v_mul_u32_u24_e32 v1, 0x6e, v1
	v_cmp_gt_u64_e32 vcc, s[12:13], v[8:9]
	v_cmp_le_u64_e64 s[0:1], s[12:13], v[8:9]
	v_sub_u32_e32 v92, v0, v1
                                        ; implicit-def: $sgpr6
	s_and_saveexec_b64 s[2:3], s[0:1]
	s_xor_b64 s[0:1], exec, s[2:3]
; %bb.10:
	v_add_u32_e32 v98, 0x6e, v92
	v_add_u32_e32 v95, 0xdc, v92
	;; [unrolled: 1-line block ×4, first 2 shown]
	s_mov_b32 s6, 0
; %bb.11:
	s_or_saveexec_b64 s[2:3], s[0:1]
	v_mov_b32_e32 v110, s6
	v_lshl_add_u64 v[74:75], v[2:3], 4, s[10:11]
                                        ; implicit-def: $vgpr72_vgpr73
                                        ; implicit-def: $vgpr68_vgpr69
                                        ; implicit-def: $vgpr64_vgpr65
                                        ; implicit-def: $vgpr60_vgpr61
                                        ; implicit-def: $vgpr56_vgpr57
                                        ; implicit-def: $vgpr52_vgpr53
                                        ; implicit-def: $vgpr48_vgpr49
                                        ; implicit-def: $vgpr44_vgpr45
                                        ; implicit-def: $vgpr40_vgpr41
                                        ; implicit-def: $vgpr36_vgpr37
                                        ; implicit-def: $vgpr8_vgpr9
                                        ; implicit-def: $vgpr2_vgpr3
	s_xor_b64 exec, exec, s[2:3]
	s_cbranch_execz .LBB0_15
; %bb.12:
	v_mad_u64_u32 v[0:1], s[0:1], s8, v92, 0
	v_mov_b32_e32 v2, v1
	v_mad_u64_u32 v[2:3], s[0:1], s9, v92, v[2:3]
	v_mov_b32_e32 v1, v2
	v_add_u32_e32 v3, 0x25d, v92
	v_lshl_add_u64 v[4:5], v[0:1], 4, v[74:75]
	v_mad_u64_u32 v[0:1], s[0:1], s8, v3, 0
	v_mov_b32_e32 v2, v1
	v_mad_u64_u32 v[2:3], s[0:1], s9, v3, v[2:3]
	v_mov_b32_e32 v1, v2
	v_add_u32_e32 v98, 0x6e, v92
	v_lshl_add_u64 v[10:11], v[0:1], 4, v[74:75]
	global_load_dwordx4 v[0:3], v[4:5], off
	global_load_dwordx4 v[6:9], v[10:11], off
	v_mad_u64_u32 v[4:5], s[0:1], s8, v98, 0
	v_mov_b32_e32 v10, v5
	v_mad_u64_u32 v[10:11], s[0:1], s9, v98, v[10:11]
	v_add_u32_e32 v13, 0x2cb, v92
	v_mov_b32_e32 v5, v10
	v_mad_u64_u32 v[10:11], s[0:1], s8, v13, 0
	v_mov_b32_e32 v12, v11
	v_mad_u64_u32 v[12:13], s[0:1], s9, v13, v[12:13]
	v_lshl_add_u64 v[4:5], v[4:5], 4, v[74:75]
	v_mov_b32_e32 v11, v12
	v_add_u32_e32 v95, 0xdc, v92
	v_lshl_add_u64 v[10:11], v[10:11], 4, v[74:75]
	global_load_dwordx4 v[34:37], v[4:5], off
	global_load_dwordx4 v[38:41], v[10:11], off
	v_mad_u64_u32 v[4:5], s[0:1], s8, v95, 0
	v_mov_b32_e32 v10, v5
	v_mad_u64_u32 v[10:11], s[0:1], s9, v95, v[10:11]
	v_add_u32_e32 v13, 0x339, v92
	v_mov_b32_e32 v5, v10
	v_mad_u64_u32 v[10:11], s[0:1], s8, v13, 0
	v_mov_b32_e32 v12, v11
	v_mad_u64_u32 v[12:13], s[0:1], s9, v13, v[12:13]
	v_lshl_add_u64 v[4:5], v[4:5], 4, v[74:75]
	;; [unrolled: 14-line block ×4, first 2 shown]
	v_mov_b32_e32 v11, v12
	v_lshl_add_u64 v[10:11], v[10:11], 4, v[74:75]
	global_load_dwordx4 v[58:61], v[4:5], off
	global_load_dwordx4 v[62:65], v[10:11], off
	v_cmp_gt_u32_e64 s[0:1], 55, v92
                                        ; implicit-def: $vgpr66_vgpr67
                                        ; implicit-def: $vgpr70_vgpr71
	s_and_saveexec_b64 s[6:7], s[0:1]
	s_cbranch_execz .LBB0_14
; %bb.13:
	v_add_u32_e32 v11, 0x226, v92
	v_mad_u64_u32 v[4:5], s[0:1], s8, v11, 0
	v_mov_b32_e32 v10, v5
	v_mad_u64_u32 v[10:11], s[0:1], s9, v11, v[10:11]
	v_add_u32_e32 v13, 0x483, v92
	v_mov_b32_e32 v5, v10
	v_mad_u64_u32 v[10:11], s[0:1], s8, v13, 0
	v_mov_b32_e32 v12, v11
	v_mad_u64_u32 v[12:13], s[0:1], s9, v13, v[12:13]
	v_lshl_add_u64 v[4:5], v[4:5], 4, v[74:75]
	v_mov_b32_e32 v11, v12
	v_lshl_add_u64 v[10:11], v[10:11], 4, v[74:75]
	global_load_dwordx4 v[66:69], v[4:5], off
	global_load_dwordx4 v[70:73], v[10:11], off
.LBB0_14:
	s_or_b64 exec, exec, s[6:7]
	v_mov_b32_e32 v110, v92
.LBB0_15:
	s_or_b64 exec, exec, s[2:3]
	s_waitcnt vmcnt(8)
	v_add_f64 v[6:7], v[0:1], -v[6:7]
	v_fma_f64 v[4:5], v[0:1], 2.0, -v[6:7]
	v_lshl_add_u32 v10, v92, 4, 0
	ds_write_b128 v10, v[4:7]
	s_waitcnt vmcnt(6)
	v_add_f64 v[6:7], v[34:35], -v[38:39]
	v_fma_f64 v[4:5], v[34:35], 2.0, -v[6:7]
	v_lshl_add_u32 v77, v98, 4, 0
	ds_write_b128 v77, v[4:7]
	;; [unrolled: 5-line block ×5, first 2 shown]
	v_add_f64 v[6:7], v[66:67], -v[70:71]
	v_add_u32_e32 v0, 0x226, v92
	v_fma_f64 v[4:5], v[66:67], 2.0, -v[6:7]
	v_cmp_gt_u32_e64 s[2:3], 55, v92
	v_lshl_add_u32 v11, v0, 4, 0
	s_and_saveexec_b64 s[0:1], s[2:3]
	s_cbranch_execz .LBB0_17
; %bb.16:
	ds_write_b128 v11, v[4:7]
.LBB0_17:
	s_or_b64 exec, exec, s[0:1]
	v_lshlrev_b32_e32 v1, 3, v92
	v_sub_u32_e32 v28, v10, v1
	v_add_u32_e32 v0, 0x800, v28
	s_waitcnt lgkmcnt(0)
	s_barrier
	ds_read2_b64 v[16:19], v0 offset0:96 offset1:228
	v_add_u32_e32 v0, 0x1000, v28
	ds_read2_b64 v[20:23], v0 offset0:82 offset1:214
	v_add_u32_e32 v0, 0x1800, v28
	ds_read2_b64 v[24:27], v0 offset0:68 offset1:200
	v_lshlrev_b32_e32 v0, 3, v98
	v_sub_u32_e32 v29, v77, v0
	ds_read2_b64 v[12:15], v28 offset1:242
	ds_read_b64 v[66:67], v29
	ds_read_b64 v[70:71], v28 offset:8624
	v_sub_u32_e32 v1, 0, v1
	v_cmp_gt_u32_e64 s[0:1], 22, v92
	v_add_u32_e32 v93, v10, v1
	v_lshlrev_b32_e32 v58, 3, v95
                                        ; implicit-def: $vgpr34_vgpr35
                                        ; implicit-def: $vgpr30_vgpr31
	s_and_saveexec_b64 s[6:7], s[0:1]
	s_cbranch_execz .LBB0_19
; %bb.18:
	v_sub_u32_e32 v1, v76, v58
	ds_read_b64 v[4:5], v1
	v_add_u32_e32 v1, 0xe40, v93
	ds_read2_b64 v[28:31], v1 offset0:6 offset1:248
	v_add_u32_e32 v1, 0x1d80, v93
	ds_read2_b64 v[32:35], v1 offset0:2 offset1:244
	s_waitcnt lgkmcnt(1)
	v_mov_b64_e32 v[6:7], v[28:29]
.LBB0_19:
	s_or_b64 exec, exec, s[6:7]
	v_add_f64 v[80:81], v[2:3], -v[8:9]
	v_fma_f64 v[78:79], v[2:3], 2.0, -v[80:81]
	v_add_f64 v[2:3], v[68:69], -v[72:73]
	v_sub_u32_e32 v28, 0, v0
	v_add_f64 v[42:43], v[36:37], -v[40:41]
	v_add_f64 v[46:47], v[44:45], -v[48:49]
	;; [unrolled: 1-line block ×4, first 2 shown]
	v_fma_f64 v[0:1], v[68:69], 2.0, -v[2:3]
	v_fma_f64 v[40:41], v[36:37], 2.0, -v[42:43]
	;; [unrolled: 1-line block ×5, first 2 shown]
	s_waitcnt lgkmcnt(0)
	s_barrier
	ds_write_b128 v10, v[78:81]
	ds_write_b128 v77, v[40:43]
	;; [unrolled: 1-line block ×5, first 2 shown]
	s_and_saveexec_b64 s[6:7], s[2:3]
	s_cbranch_execz .LBB0_21
; %bb.20:
	ds_write_b128 v11, v[0:3]
.LBB0_21:
	s_or_b64 exec, exec, s[6:7]
	v_add_u32_e32 v29, 0x800, v93
	s_waitcnt lgkmcnt(0)
	s_barrier
	ds_read2_b64 v[36:39], v29 offset0:96 offset1:228
	v_add_u32_e32 v29, 0x1000, v93
	ds_read2_b64 v[40:43], v29 offset0:82 offset1:214
	v_add_u32_e32 v29, 0x1800, v93
	v_add_u32_e32 v94, v77, v28
	ds_read2_b64 v[8:11], v93 offset1:242
	ds_read2_b64 v[48:51], v29 offset0:68 offset1:200
	ds_read_b64 v[28:29], v94
	ds_read_b64 v[64:65], v93 offset:8624
                                        ; implicit-def: $vgpr54_vgpr55
                                        ; implicit-def: $vgpr46_vgpr47
	s_and_saveexec_b64 s[2:3], s[0:1]
	s_cbranch_execz .LBB0_23
; %bb.22:
	v_add_u32_e32 v2, 0xe40, v93
	v_sub_u32_e32 v0, v76, v58
	ds_read2_b64 v[44:47], v2 offset0:6 offset1:248
	v_add_u32_e32 v2, 0x1d80, v93
	ds_read_b64 v[0:1], v0
	ds_read2_b64 v[52:55], v2 offset0:2 offset1:244
	s_waitcnt lgkmcnt(2)
	v_mov_b64_e32 v[2:3], v[44:45]
.LBB0_23:
	s_or_b64 exec, exec, s[2:3]
	v_and_b32_e32 v99, 1, v92
	v_lshlrev_b32_e32 v44, 6, v99
	global_load_dwordx4 v[56:59], v44, s[4:5] offset:48
	global_load_dwordx4 v[60:63], v44, s[4:5] offset:32
	;; [unrolled: 1-line block ×3, first 2 shown]
	global_load_dwordx4 v[106:109], v44, s[4:5]
	v_lshrrev_b32_e32 v44, 1, v92
	v_mul_u32_u24_e32 v44, 10, v44
	v_or_b32_e32 v44, v44, v99
	v_lshl_add_u32 v100, v44, 3, 0
	s_mov_b32 s12, 0x134454ff
	s_mov_b32 s13, 0x3fee6f0e
	;; [unrolled: 1-line block ×10, first 2 shown]
	s_waitcnt lgkmcnt(0)
	s_barrier
	s_waitcnt vmcnt(3)
	v_mul_f64 v[90:91], v[50:51], v[58:59]
	s_waitcnt vmcnt(2)
	v_mul_f64 v[120:121], v[42:43], v[62:63]
	;; [unrolled: 2-line block ×3, first 2 shown]
	v_mul_f64 v[124:125], v[46:47], v[104:105]
	s_waitcnt vmcnt(0)
	v_mul_f64 v[126:127], v[10:11], v[108:109]
	v_mul_f64 v[128:129], v[38:39], v[104:105]
	;; [unrolled: 1-line block ×18, first 2 shown]
	v_fma_f64 v[90:91], v[26:27], v[56:57], -v[90:91]
	v_fma_f64 v[22:23], v[22:23], v[60:61], -v[120:121]
	v_fmac_f64_e32 v[78:79], v[40:41], v[102:103]
	v_fma_f64 v[40:41], v[30:31], v[102:103], -v[124:125]
	v_fma_f64 v[30:31], v[14:15], v[106:107], -v[126:127]
	;; [unrolled: 1-line block ×3, first 2 shown]
	v_mul_f64 v[80:81], v[16:17], v[108:109]
	v_mul_f64 v[68:69], v[6:7], v[108:109]
	v_fmac_f64_e32 v[84:85], v[42:43], v[60:61]
	v_fmac_f64_e32 v[86:87], v[38:39], v[102:103]
	;; [unrolled: 1-line block ×3, first 2 shown]
	v_fma_f64 v[10:11], v[16:17], v[106:107], -v[104:105]
	v_fma_f64 v[14:15], v[6:7], v[106:107], -v[130:131]
	v_add_f64 v[6:7], v[18:19], v[22:23]
	v_add_f64 v[16:17], v[30:31], v[90:91]
	v_fmac_f64_e32 v[82:83], v[50:51], v[56:57]
	v_fmac_f64_e32 v[80:81], v[36:37], v[106:107]
	;; [unrolled: 1-line block ×3, first 2 shown]
	v_add_f64 v[2:3], v[12:13], v[30:31]
	v_add_f64 v[36:37], v[18:19], -v[30:31]
	v_add_f64 v[38:39], v[22:23], -v[90:91]
	;; [unrolled: 1-line block ×3, first 2 shown]
	v_fma_f64 v[6:7], -0.5, v[6:7], v[12:13]
	v_fmac_f64_e32 v[12:13], -0.5, v[16:17]
	v_fmac_f64_e32 v[62:63], v[46:47], v[102:103]
	v_add_f64 v[46:47], v[88:89], -v[82:83]
	v_add_f64 v[16:17], v[36:37], v[38:39]
	v_fma_f64 v[36:37], s[10:11], v[42:43], v[12:13]
	v_fmac_f64_e32 v[12:13], s[12:13], v[42:43]
	v_fmac_f64_e32 v[36:37], s[6:7], v[46:47]
	;; [unrolled: 1-line block ×4, first 2 shown]
	v_add_f64 v[48:49], v[30:31], -v[18:19]
	v_add_f64 v[50:51], v[90:91], -v[22:23]
	v_fmac_f64_e32 v[36:37], s[2:3], v[16:17]
	v_fmac_f64_e32 v[12:13], s[2:3], v[16:17]
	v_fma_f64 v[16:17], s[12:13], v[46:47], v[6:7]
	v_add_f64 v[2:3], v[2:3], v[18:19]
	ds_write2_b64 v100, v[36:37], v[12:13] offset0:4 offset1:6
	v_add_f64 v[12:13], v[48:49], v[50:51]
	v_fmac_f64_e32 v[6:7], s[10:11], v[46:47]
	v_fmac_f64_e32 v[16:17], s[6:7], v[42:43]
	v_add_f64 v[2:3], v[2:3], v[22:23]
	v_fma_f64 v[24:25], v[24:25], v[60:61], -v[112:113]
	v_fma_f64 v[26:27], v[70:71], v[56:57], -v[114:115]
	;; [unrolled: 1-line block ×3, first 2 shown]
	v_fmac_f64_e32 v[6:7], s[14:15], v[42:43]
	v_add_f64 v[2:3], v[2:3], v[90:91]
	v_fmac_f64_e32 v[16:17], s[2:3], v[12:13]
	v_fmac_f64_e32 v[76:77], v[64:65], v[56:57]
	;; [unrolled: 1-line block ×3, first 2 shown]
	v_add_f64 v[12:13], v[20:21], v[24:25]
	ds_write2_b64 v100, v[2:3], v[16:17] offset1:2
	v_add_f64 v[2:3], v[10:11], -v[20:21]
	v_add_f64 v[16:17], v[26:27], -v[24:25]
	v_fma_f64 v[12:13], -0.5, v[12:13], v[66:67]
	v_add_f64 v[2:3], v[2:3], v[16:17]
	v_add_f64 v[16:17], v[80:81], -v[76:77]
	v_fma_f64 v[36:37], s[12:13], v[16:17], v[12:13]
	v_add_f64 v[38:39], v[78:79], -v[72:73]
	v_fmac_f64_e32 v[12:13], s[10:11], v[16:17]
	v_fmac_f64_e32 v[36:37], s[6:7], v[38:39]
	v_fmac_f64_e32 v[12:13], s[14:15], v[38:39]
	v_fmac_f64_e32 v[36:37], s[2:3], v[2:3]
	v_fmac_f64_e32 v[12:13], s[2:3], v[2:3]
	v_add_f64 v[2:3], v[66:67], v[10:11]
	v_add_f64 v[42:43], v[10:11], v[26:27]
	ds_write_b64 v100, v[6:7] offset:64
	v_lshrrev_b32_e32 v6, 1, v98
	v_fmac_f64_e32 v[66:67], -0.5, v[42:43]
	v_add_f64 v[2:3], v[2:3], v[20:21]
	v_mul_lo_u32 v6, v6, 10
	v_add_f64 v[42:43], v[20:21], -v[10:11]
	v_add_f64 v[46:47], v[24:25], -v[26:27]
	v_fma_f64 v[48:49], s[10:11], v[38:39], v[66:67]
	v_fmac_f64_e32 v[66:67], s[12:13], v[38:39]
	v_add_f64 v[2:3], v[2:3], v[24:25]
	v_or_b32_e32 v6, v6, v99
	v_fma_f64 v[34:35], v[34:35], v[56:57], -v[116:117]
	v_fmac_f64_e32 v[44:45], v[54:55], v[56:57]
	v_fma_f64 v[32:33], v[32:33], v[60:61], -v[118:119]
	v_fmac_f64_e32 v[58:59], v[52:53], v[60:61]
	v_add_f64 v[42:43], v[42:43], v[46:47]
	v_fmac_f64_e32 v[48:49], s[6:7], v[16:17]
	v_fmac_f64_e32 v[66:67], s[14:15], v[16:17]
	v_add_f64 v[2:3], v[2:3], v[26:27]
	v_lshl_add_u32 v47, v6, 3, 0
	v_lshrrev_b32_e32 v46, 1, v95
	v_fmac_f64_e32 v[48:49], s[2:3], v[42:43]
	v_fmac_f64_e32 v[66:67], s[2:3], v[42:43]
	ds_write2_b64 v47, v[2:3], v[36:37] offset1:2
	ds_write2_b64 v47, v[48:49], v[66:67] offset0:4 offset1:6
	ds_write_b64 v47, v[12:13] offset:64
	s_and_saveexec_b64 s[16:17], s[0:1]
	s_cbranch_execz .LBB0_25
; %bb.24:
	v_add_f64 v[2:3], v[40:41], -v[14:15]
	v_add_f64 v[6:7], v[32:33], -v[34:35]
	v_add_f64 v[12:13], v[14:15], v[34:35]
	v_add_f64 v[2:3], v[2:3], v[6:7]
	v_add_f64 v[6:7], v[62:63], -v[58:59]
	v_fma_f64 v[12:13], -0.5, v[12:13], v[4:5]
	v_fma_f64 v[16:17], s[12:13], v[6:7], v[12:13]
	v_add_f64 v[36:37], v[68:69], -v[44:45]
	v_fmac_f64_e32 v[12:13], s[10:11], v[6:7]
	v_fmac_f64_e32 v[16:17], s[14:15], v[36:37]
	;; [unrolled: 1-line block ×5, first 2 shown]
	v_add_f64 v[2:3], v[14:15], -v[40:41]
	v_add_f64 v[38:39], v[34:35], -v[32:33]
	v_add_f64 v[2:3], v[2:3], v[38:39]
	v_add_f64 v[38:39], v[40:41], v[32:33]
	v_fma_f64 v[38:39], -0.5, v[38:39], v[4:5]
	v_fma_f64 v[42:43], s[10:11], v[36:37], v[38:39]
	v_fmac_f64_e32 v[38:39], s[12:13], v[36:37]
	v_fmac_f64_e32 v[42:43], s[14:15], v[6:7]
	;; [unrolled: 1-line block ×5, first 2 shown]
	v_add_f64 v[2:3], v[4:5], v[14:15]
	v_add_f64 v[2:3], v[2:3], v[40:41]
	v_mul_lo_u32 v4, v46, 10
	v_add_f64 v[2:3], v[2:3], v[32:33]
	v_or_b32_e32 v4, v4, v99
	v_add_f64 v[2:3], v[2:3], v[34:35]
	v_lshl_add_u32 v4, v4, 3, 0
	ds_write2_b64 v4, v[2:3], v[38:39] offset1:2
	ds_write2_b64 v4, v[12:13], v[16:17] offset0:4 offset1:6
	ds_write_b64 v4, v[42:43] offset:64
.LBB0_25:
	s_or_b64 exec, exec, s[16:17]
	v_add_f64 v[2:3], v[8:9], v[88:89]
	v_add_f64 v[2:3], v[2:3], v[86:87]
	;; [unrolled: 1-line block ×5, first 2 shown]
	v_fma_f64 v[50:51], -0.5, v[2:3], v[8:9]
	v_add_f64 v[2:3], v[30:31], -v[90:91]
	v_fma_f64 v[52:53], s[10:11], v[2:3], v[50:51]
	v_add_f64 v[4:5], v[18:19], -v[22:23]
	v_add_f64 v[6:7], v[88:89], -v[86:87]
	v_add_f64 v[12:13], v[82:83], -v[84:85]
	v_fmac_f64_e32 v[50:51], s[12:13], v[2:3]
	v_fmac_f64_e32 v[52:53], s[14:15], v[4:5]
	v_add_f64 v[6:7], v[6:7], v[12:13]
	v_fmac_f64_e32 v[50:51], s[6:7], v[4:5]
	v_fmac_f64_e32 v[52:53], s[2:3], v[6:7]
	;; [unrolled: 1-line block ×3, first 2 shown]
	v_add_f64 v[6:7], v[88:89], v[82:83]
	v_fmac_f64_e32 v[8:9], -0.5, v[6:7]
	v_fma_f64 v[18:19], s[12:13], v[4:5], v[8:9]
	v_fmac_f64_e32 v[8:9], s[10:11], v[4:5]
	v_fmac_f64_e32 v[18:19], s[14:15], v[2:3]
	;; [unrolled: 1-line block ×3, first 2 shown]
	v_add_f64 v[2:3], v[28:29], v[80:81]
	v_add_f64 v[2:3], v[2:3], v[78:79]
	;; [unrolled: 1-line block ×3, first 2 shown]
	v_add_f64 v[6:7], v[86:87], -v[88:89]
	v_add_f64 v[12:13], v[84:85], -v[82:83]
	v_add_f64 v[54:55], v[2:3], v[76:77]
	v_add_f64 v[2:3], v[78:79], v[72:73]
	;; [unrolled: 1-line block ×3, first 2 shown]
	v_fma_f64 v[56:57], -0.5, v[2:3], v[28:29]
	v_add_f64 v[2:3], v[10:11], -v[26:27]
	v_fmac_f64_e32 v[18:19], s[2:3], v[6:7]
	v_fmac_f64_e32 v[8:9], s[2:3], v[6:7]
	v_fma_f64 v[60:61], s[10:11], v[2:3], v[56:57]
	v_add_f64 v[4:5], v[20:21], -v[24:25]
	v_add_f64 v[6:7], v[80:81], -v[78:79]
	v_add_f64 v[10:11], v[76:77], -v[72:73]
	v_fmac_f64_e32 v[56:57], s[12:13], v[2:3]
	v_fmac_f64_e32 v[60:61], s[14:15], v[4:5]
	v_add_f64 v[6:7], v[6:7], v[10:11]
	v_fmac_f64_e32 v[56:57], s[6:7], v[4:5]
	v_fmac_f64_e32 v[60:61], s[2:3], v[6:7]
	v_fmac_f64_e32 v[56:57], s[2:3], v[6:7]
	v_add_f64 v[6:7], v[80:81], v[76:77]
	v_fmac_f64_e32 v[28:29], -0.5, v[6:7]
	v_fma_f64 v[64:65], s[12:13], v[4:5], v[28:29]
	v_add_f64 v[6:7], v[78:79], -v[80:81]
	v_add_f64 v[10:11], v[72:73], -v[76:77]
	v_fmac_f64_e32 v[28:29], s[10:11], v[4:5]
	v_fmac_f64_e32 v[64:65], s[14:15], v[2:3]
	v_add_f64 v[6:7], v[6:7], v[10:11]
	v_fmac_f64_e32 v[28:29], s[6:7], v[2:3]
	v_lshl_add_u32 v36, v95, 3, 0
	v_fmac_f64_e32 v[64:65], s[2:3], v[6:7]
	v_fmac_f64_e32 v[28:29], s[2:3], v[6:7]
	s_waitcnt lgkmcnt(0)
	s_barrier
	ds_read_b64 v[16:17], v93 offset:8800
	ds_read_b64 v[6:7], v93
	ds_read_b64 v[20:21], v94
	v_lshl_add_u32 v37, v96, 3, 0
	v_lshl_add_u32 v38, v97, 3, 0
	;; [unrolled: 1-line block ×3, first 2 shown]
	ds_read_b64 v[30:31], v36
	ds_read_b64 v[26:27], v37
	;; [unrolled: 1-line block ×3, first 2 shown]
	ds_read_b64 v[22:23], v39 offset:4400
	v_add_u32_e32 v42, 0x1400, v93
	v_add_u32_e32 v43, 0x1800, v93
	ds_read2_b64 v[10:13], v42 offset0:20 offset1:130
	ds_read2_b64 v[2:5], v43 offset0:112 offset1:222
	s_waitcnt lgkmcnt(0)
	s_barrier
	ds_write2_b64 v100, v[48:49], v[52:53] offset1:2
	ds_write2_b64 v100, v[18:19], v[8:9] offset0:4 offset1:6
	ds_write_b64 v100, v[50:51] offset:64
	ds_write2_b64 v47, v[54:55], v[60:61] offset1:2
	ds_write2_b64 v47, v[64:65], v[28:29] offset0:4 offset1:6
	ds_write_b64 v47, v[56:57] offset:64
	s_and_saveexec_b64 s[2:3], s[0:1]
	s_cbranch_execz .LBB0_27
; %bb.26:
	v_add_f64 v[18:19], v[62:63], v[58:59]
	s_mov_b32 s0, 0x134454ff
	v_fma_f64 v[18:19], -0.5, v[18:19], v[0:1]
	v_add_f64 v[14:15], v[14:15], -v[34:35]
	s_mov_b32 s1, 0xbfee6f0e
	s_mov_b32 s6, 0x4755a5e
	;; [unrolled: 1-line block ×4, first 2 shown]
	v_fma_f64 v[28:29], s[0:1], v[14:15], v[18:19]
	v_add_f64 v[32:33], v[40:41], -v[32:33]
	s_mov_b32 s7, 0xbfe2cf23
	v_add_f64 v[34:35], v[68:69], -v[62:63]
	v_add_f64 v[40:41], v[44:45], -v[58:59]
	s_mov_b32 s10, 0x372fe950
	v_fmac_f64_e32 v[18:19], s[12:13], v[14:15]
	s_mov_b32 s15, 0x3fe2cf23
	s_mov_b32 s14, s6
	v_fmac_f64_e32 v[28:29], s[6:7], v[32:33]
	v_add_f64 v[34:35], v[34:35], v[40:41]
	s_mov_b32 s11, 0x3fd3c6ef
	v_fmac_f64_e32 v[18:19], s[14:15], v[32:33]
	v_fmac_f64_e32 v[28:29], s[10:11], v[34:35]
	;; [unrolled: 1-line block ×3, first 2 shown]
	v_add_f64 v[34:35], v[68:69], v[44:45]
	v_add_f64 v[8:9], v[0:1], v[68:69]
	v_fmac_f64_e32 v[0:1], -0.5, v[34:35]
	v_add_f64 v[8:9], v[8:9], v[62:63]
	v_fma_f64 v[34:35], s[12:13], v[32:33], v[0:1]
	v_fmac_f64_e32 v[0:1], s[0:1], v[32:33]
	v_add_f64 v[8:9], v[8:9], v[58:59]
	v_fmac_f64_e32 v[34:35], s[6:7], v[14:15]
	v_fmac_f64_e32 v[0:1], s[14:15], v[14:15]
	v_mul_lo_u32 v14, v46, 10
	v_add_f64 v[8:9], v[8:9], v[44:45]
	v_add_f64 v[40:41], v[62:63], -v[68:69]
	v_add_f64 v[44:45], v[58:59], -v[44:45]
	v_or_b32_e32 v14, v14, v99
	v_add_f64 v[40:41], v[40:41], v[44:45]
	v_lshl_add_u32 v14, v14, 3, 0
	v_fmac_f64_e32 v[34:35], s[10:11], v[40:41]
	v_fmac_f64_e32 v[0:1], s[10:11], v[40:41]
	ds_write2_b64 v14, v[8:9], v[28:29] offset1:2
	ds_write2_b64 v14, v[34:35], v[0:1] offset0:4 offset1:6
	ds_write_b64 v14, v[18:19] offset:64
.LBB0_27:
	s_or_b64 exec, exec, s[2:3]
	s_movk_i32 s0, 0xcd
	v_mul_lo_u16_sdwa v0, v92, s0 dst_sel:DWORD dst_unused:UNUSED_PAD src0_sel:BYTE_0 src1_sel:DWORD
	v_lshrrev_b16_e32 v34, 11, v0
	v_mul_lo_u16_e32 v0, 10, v34
	v_sub_u16_e32 v35, v92, v0
	v_mov_b32_e32 v0, 10
	v_mul_u32_u24_sdwa v0, v35, v0 dst_sel:DWORD dst_unused:UNUSED_PAD src0_sel:BYTE_0 src1_sel:DWORD
	v_lshlrev_b32_e32 v0, 4, v0
	s_waitcnt lgkmcnt(0)
	s_barrier
	global_load_dwordx4 v[44:47], v0, s[4:5] offset:128
	global_load_dwordx4 v[48:51], v0, s[4:5] offset:144
	;; [unrolled: 1-line block ×10, first 2 shown]
	ds_read_b64 v[0:1], v94
	ds_read_b64 v[8:9], v36
	;; [unrolled: 1-line block ×4, first 2 shown]
	ds_read_b64 v[100:101], v39 offset:4400
	ds_read2_b64 v[88:91], v42 offset0:20 offset1:130
	ds_read2_b64 v[96:99], v43 offset0:112 offset1:222
	ds_read_b64 v[102:103], v93
	ds_read_b64 v[104:105], v93 offset:8800
	s_mov_b32 s2, 0xf8bb580b
	s_mov_b32 s10, 0x8eee2c13
	s_mov_b32 s14, 0x43842ef
	s_mov_b32 s18, 0xbb3a28a1
	s_mov_b32 s22, 0xfd768dbf
	s_mov_b32 s3, 0xbfe14ced
	s_mov_b32 s0, 0x8764f0ba
	s_mov_b32 s11, 0xbfed1bb4
	s_mov_b32 s6, 0xd9c712b6
	s_mov_b32 s15, 0xbfefac9e
	s_mov_b32 s12, 0x640f44db
	s_mov_b32 s19, 0xbfe82f19
	s_mov_b32 s16, 0x7f775887
	s_mov_b32 s23, 0xbfd207e7
	s_mov_b32 s20, 0x9bcd5057
	s_mov_b32 s1, 0x3feaeb8c
	s_mov_b32 s7, 0x3fda9628
	s_mov_b32 s13, 0xbfc2375f
	s_mov_b32 s17, 0xbfe4f49e
	s_mov_b32 s21, 0xbfeeb42a
	s_mov_b32 s25, 0x3fd207e7
	s_mov_b32 s24, s22
	s_mov_b32 s27, 0x3fefac9e
	s_mov_b32 s26, s14
	s_mov_b32 s29, 0x3fe14ced
	s_mov_b32 s28, s2
	s_mov_b32 s31, 0x3fed1bb4
	s_mov_b32 s30, s10
	s_waitcnt lgkmcnt(0)
	s_barrier
	s_waitcnt vmcnt(9)
	v_mul_f64 v[106:107], v[0:1], v[46:47]
	v_mul_f64 v[46:47], v[20:21], v[46:47]
	s_waitcnt vmcnt(8)
	v_mul_f64 v[108:109], v[8:9], v[50:51]
	v_mul_f64 v[50:51], v[30:31], v[50:51]
	v_fma_f64 v[106:107], v[20:21], v[44:45], -v[106:107]
	v_fmac_f64_e32 v[46:47], v[0:1], v[44:45]
	s_waitcnt vmcnt(7)
	v_mul_f64 v[112:113], v[40:41], v[54:55]
	v_mul_f64 v[54:55], v[26:27], v[54:55]
	v_fma_f64 v[30:31], v[30:31], v[48:49], -v[108:109]
	s_waitcnt vmcnt(0)
	v_mul_f64 v[118:119], v[104:105], v[86:87]
	v_mul_f64 v[86:87], v[16:17], v[86:87]
	v_fmac_f64_e32 v[50:51], v[8:9], v[48:49]
	v_fma_f64 v[0:1], v[16:17], v[84:85], -v[118:119]
	v_add_f64 v[8:9], v[6:7], v[106:107]
	v_add_f64 v[16:17], v[102:103], v[46:47]
	v_mul_f64 v[114:115], v[72:73], v[58:59]
	v_mul_f64 v[28:29], v[24:25], v[58:59]
	v_fma_f64 v[26:27], v[26:27], v[52:53], -v[112:113]
	v_fmac_f64_e32 v[54:55], v[40:41], v[52:53]
	v_add_f64 v[8:9], v[8:9], v[30:31]
	v_add_f64 v[16:17], v[16:17], v[50:51]
	v_mul_f64 v[58:59], v[100:101], v[62:63]
	v_mul_f64 v[14:15], v[22:23], v[62:63]
	v_fma_f64 v[24:25], v[24:25], v[56:57], -v[114:115]
	v_fmac_f64_e32 v[28:29], v[72:73], v[56:57]
	;; [unrolled: 6-line block ×6, first 2 shown]
	v_fmac_f64_e32 v[86:87], v[104:105], v[84:85]
	v_add_f64 v[8:9], v[8:9], v[12:13]
	v_add_f64 v[16:17], v[16:17], v[32:33]
	v_fma_f64 v[4:5], v[4:5], v[80:81], -v[116:117]
	v_fmac_f64_e32 v[82:83], v[98:99], v[80:81]
	v_add_f64 v[40:41], v[46:47], v[86:87]
	v_add_f64 v[46:47], v[46:47], -v[86:87]
	v_add_f64 v[8:9], v[8:9], v[2:3]
	v_add_f64 v[16:17], v[16:17], v[78:79]
	;; [unrolled: 1-line block ×3, first 2 shown]
	v_add_f64 v[44:45], v[106:107], -v[0:1]
	v_mul_f64 v[48:49], v[46:47], s[2:3]
	v_add_f64 v[8:9], v[8:9], v[4:5]
	v_add_f64 v[16:17], v[16:17], v[82:83]
	v_mul_f64 v[58:59], v[46:47], s[10:11]
	v_mul_f64 v[66:67], v[46:47], s[14:15]
	;; [unrolled: 1-line block ×4, first 2 shown]
	v_add_f64 v[0:1], v[8:9], v[0:1]
	v_add_f64 v[8:9], v[16:17], v[86:87]
	v_fma_f64 v[16:17], v[22:23], s[0:1], -v[48:49]
	v_mul_f64 v[52:53], v[44:45], s[2:3]
	v_fmac_f64_e32 v[48:49], s[0:1], v[22:23]
	v_fma_f64 v[60:61], v[22:23], s[6:7], -v[58:59]
	v_mul_f64 v[62:63], v[44:45], s[10:11]
	v_fmac_f64_e32 v[58:59], s[6:7], v[22:23]
	;; [unrolled: 3-line block ×4, first 2 shown]
	v_fma_f64 v[86:87], v[22:23], s[20:21], -v[46:47]
	v_fmac_f64_e32 v[46:47], s[20:21], v[22:23]
	v_mul_f64 v[44:45], v[44:45], s[22:23]
	v_add_f64 v[16:17], v[6:7], v[16:17]
	v_fma_f64 v[56:57], s[0:1], v[40:41], v[52:53]
	v_add_f64 v[48:49], v[6:7], v[48:49]
	v_fma_f64 v[52:53], v[40:41], s[0:1], -v[52:53]
	v_add_f64 v[60:61], v[6:7], v[60:61]
	v_fma_f64 v[64:65], s[6:7], v[40:41], v[62:63]
	v_add_f64 v[58:59], v[6:7], v[58:59]
	v_fma_f64 v[62:63], v[40:41], s[6:7], -v[62:63]
	;; [unrolled: 4-line block ×4, first 2 shown]
	v_add_f64 v[86:87], v[6:7], v[86:87]
	v_add_f64 v[6:7], v[6:7], v[46:47]
	v_fma_f64 v[46:47], s[20:21], v[40:41], v[44:45]
	v_fma_f64 v[40:41], v[40:41], s[20:21], -v[44:45]
	v_add_f64 v[44:45], v[30:31], v[4:5]
	v_add_f64 v[4:5], v[30:31], -v[4:5]
	v_add_f64 v[30:31], v[50:51], -v[82:83]
	v_add_f64 v[88:89], v[50:51], v[82:83]
	v_mul_f64 v[50:51], v[30:31], s[10:11]
	v_fma_f64 v[82:83], v[44:45], s[6:7], -v[50:51]
	v_add_f64 v[16:17], v[82:83], v[16:17]
	v_mul_f64 v[82:83], v[4:5], s[10:11]
	v_fmac_f64_e32 v[50:51], s[6:7], v[44:45]
	v_add_f64 v[52:53], v[102:103], v[52:53]
	v_add_f64 v[48:49], v[50:51], v[48:49]
	v_fma_f64 v[50:51], v[88:89], s[6:7], -v[82:83]
	v_add_f64 v[50:51], v[50:51], v[52:53]
	v_mul_f64 v[52:53], v[30:31], s[18:19]
	v_fma_f64 v[90:91], s[6:7], v[88:89], v[82:83]
	v_fma_f64 v[82:83], v[44:45], s[16:17], -v[52:53]
	v_add_f64 v[60:61], v[82:83], v[60:61]
	v_mul_f64 v[82:83], v[4:5], s[18:19]
	v_fmac_f64_e32 v[52:53], s[16:17], v[44:45]
	v_add_f64 v[62:63], v[102:103], v[62:63]
	v_add_f64 v[52:53], v[52:53], v[58:59]
	v_fma_f64 v[58:59], v[88:89], s[16:17], -v[82:83]
	v_add_f64 v[56:57], v[102:103], v[56:57]
	v_add_f64 v[58:59], v[58:59], v[62:63]
	v_mul_f64 v[62:63], v[30:31], s[24:25]
	v_add_f64 v[56:57], v[90:91], v[56:57]
	v_fma_f64 v[90:91], s[16:17], v[88:89], v[82:83]
	v_fma_f64 v[82:83], v[44:45], s[20:21], -v[62:63]
	v_add_f64 v[68:69], v[82:83], v[68:69]
	v_mul_f64 v[82:83], v[4:5], s[24:25]
	v_fmac_f64_e32 v[62:63], s[20:21], v[44:45]
	v_add_f64 v[70:71], v[102:103], v[70:71]
	v_add_f64 v[62:63], v[62:63], v[66:67]
	v_fma_f64 v[66:67], v[88:89], s[20:21], -v[82:83]
	v_add_f64 v[64:65], v[102:103], v[64:65]
	v_add_f64 v[66:67], v[66:67], v[70:71]
	v_mul_f64 v[70:71], v[30:31], s[26:27]
	v_add_f64 v[64:65], v[90:91], v[64:65]
	v_fma_f64 v[90:91], s[20:21], v[88:89], v[82:83]
	v_fma_f64 v[82:83], v[44:45], s[12:13], -v[70:71]
	v_add_f64 v[72:73], v[102:103], v[72:73]
	v_add_f64 v[80:81], v[82:83], v[80:81]
	v_mul_f64 v[82:83], v[4:5], s[26:27]
	v_fmac_f64_e32 v[70:71], s[12:13], v[44:45]
	v_mul_f64 v[30:31], v[30:31], s[28:29]
	v_add_f64 v[72:73], v[90:91], v[72:73]
	v_fma_f64 v[90:91], s[12:13], v[88:89], v[82:83]
	v_add_f64 v[70:71], v[70:71], v[76:77]
	v_fma_f64 v[76:77], v[88:89], s[12:13], -v[82:83]
	v_fma_f64 v[82:83], v[44:45], s[0:1], -v[30:31]
	v_fmac_f64_e32 v[30:31], s[0:1], v[44:45]
	v_add_f64 v[84:85], v[102:103], v[84:85]
	v_mul_f64 v[4:5], v[4:5], s[28:29]
	v_add_f64 v[6:7], v[30:31], v[6:7]
	v_add_f64 v[30:31], v[26:27], v[2:3]
	v_add_f64 v[2:3], v[26:27], -v[2:3]
	v_add_f64 v[26:27], v[54:55], -v[78:79]
	v_add_f64 v[40:41], v[102:103], v[40:41]
	v_add_f64 v[76:77], v[76:77], v[84:85]
	v_fma_f64 v[84:85], s[0:1], v[88:89], v[4:5]
	v_fma_f64 v[4:5], v[88:89], s[0:1], -v[4:5]
	v_mul_f64 v[44:45], v[26:27], s[14:15]
	v_add_f64 v[4:5], v[4:5], v[40:41]
	v_add_f64 v[40:41], v[54:55], v[78:79]
	v_fma_f64 v[54:55], v[30:31], s[12:13], -v[44:45]
	v_add_f64 v[16:17], v[54:55], v[16:17]
	v_mul_f64 v[54:55], v[2:3], s[14:15]
	v_fmac_f64_e32 v[44:45], s[12:13], v[30:31]
	v_add_f64 v[44:45], v[44:45], v[48:49]
	v_fma_f64 v[48:49], v[40:41], s[12:13], -v[54:55]
	v_add_f64 v[48:49], v[48:49], v[50:51]
	v_mul_f64 v[50:51], v[26:27], s[24:25]
	v_fma_f64 v[78:79], s[12:13], v[40:41], v[54:55]
	v_fma_f64 v[54:55], v[30:31], s[20:21], -v[50:51]
	v_add_f64 v[54:55], v[54:55], v[60:61]
	v_mul_f64 v[60:61], v[2:3], s[24:25]
	v_fmac_f64_e32 v[50:51], s[20:21], v[30:31]
	v_add_f64 v[50:51], v[50:51], v[52:53]
	v_fma_f64 v[52:53], v[40:41], s[20:21], -v[60:61]
	v_add_f64 v[52:53], v[52:53], v[58:59]
	v_mul_f64 v[58:59], v[26:27], s[30:31]
	v_add_f64 v[56:57], v[78:79], v[56:57]
	v_fma_f64 v[78:79], s[20:21], v[40:41], v[60:61]
	v_fma_f64 v[60:61], v[30:31], s[6:7], -v[58:59]
	v_add_f64 v[60:61], v[60:61], v[68:69]
	v_mul_f64 v[68:69], v[2:3], s[30:31]
	v_fmac_f64_e32 v[58:59], s[6:7], v[30:31]
	v_add_f64 v[58:59], v[58:59], v[62:63]
	v_fma_f64 v[62:63], v[40:41], s[6:7], -v[68:69]
	v_add_f64 v[64:65], v[78:79], v[64:65]
	v_fma_f64 v[78:79], s[6:7], v[40:41], v[68:69]
	v_add_f64 v[62:63], v[62:63], v[66:67]
	v_mul_f64 v[66:67], v[26:27], s[2:3]
	v_add_f64 v[72:73], v[78:79], v[72:73]
	v_fma_f64 v[68:69], v[30:31], s[0:1], -v[66:67]
	v_mul_f64 v[78:79], v[2:3], s[2:3]
	v_fmac_f64_e32 v[66:67], s[0:1], v[30:31]
	v_mul_f64 v[2:3], v[2:3], s[18:19]
	v_add_f64 v[68:69], v[68:69], v[80:81]
	v_fma_f64 v[80:81], s[0:1], v[40:41], v[78:79]
	v_add_f64 v[66:67], v[66:67], v[70:71]
	v_fma_f64 v[70:71], v[40:41], s[0:1], -v[78:79]
	v_mul_f64 v[26:27], v[26:27], s[18:19]
	v_fma_f64 v[78:79], s[16:17], v[40:41], v[2:3]
	v_fma_f64 v[2:3], v[40:41], s[16:17], -v[2:3]
	v_add_f64 v[70:71], v[70:71], v[76:77]
	v_fma_f64 v[76:77], v[30:31], s[16:17], -v[26:27]
	v_fmac_f64_e32 v[26:27], s[16:17], v[30:31]
	v_add_f64 v[2:3], v[2:3], v[4:5]
	v_add_f64 v[4:5], v[24:25], v[12:13]
	v_add_f64 v[12:13], v[24:25], -v[12:13]
	v_add_f64 v[24:25], v[28:29], -v[32:33]
	v_add_f64 v[6:7], v[26:27], v[6:7]
	v_add_f64 v[26:27], v[28:29], v[32:33]
	v_mul_f64 v[28:29], v[24:25], s[18:19]
	v_fma_f64 v[30:31], v[4:5], s[16:17], -v[28:29]
	v_add_f64 v[16:17], v[30:31], v[16:17]
	v_mul_f64 v[30:31], v[12:13], s[18:19]
	v_fma_f64 v[32:33], s[16:17], v[26:27], v[30:31]
	v_fmac_f64_e32 v[28:29], s[16:17], v[4:5]
	v_fma_f64 v[30:31], v[26:27], s[16:17], -v[30:31]
	v_mul_f64 v[40:41], v[24:25], s[26:27]
	v_add_f64 v[28:29], v[28:29], v[44:45]
	v_add_f64 v[30:31], v[30:31], v[48:49]
	v_fma_f64 v[44:45], v[4:5], s[12:13], -v[40:41]
	v_mul_f64 v[48:49], v[12:13], s[26:27]
	v_fmac_f64_e32 v[40:41], s[12:13], v[4:5]
	v_add_f64 v[44:45], v[44:45], v[54:55]
	v_fma_f64 v[54:55], s[12:13], v[26:27], v[48:49]
	v_add_f64 v[40:41], v[40:41], v[50:51]
	v_fma_f64 v[48:49], v[26:27], s[12:13], -v[48:49]
	v_mul_f64 v[50:51], v[24:25], s[2:3]
	v_add_f64 v[32:33], v[32:33], v[56:57]
	v_add_f64 v[48:49], v[48:49], v[52:53]
	v_fma_f64 v[52:53], v[4:5], s[0:1], -v[50:51]
	v_mul_f64 v[56:57], v[12:13], s[2:3]
	v_fmac_f64_e32 v[50:51], s[0:1], v[4:5]
	v_add_f64 v[22:23], v[102:103], v[22:23]
	v_add_f64 v[52:53], v[52:53], v[60:61]
	v_fma_f64 v[60:61], s[0:1], v[26:27], v[56:57]
	v_add_f64 v[50:51], v[50:51], v[58:59]
	v_fma_f64 v[56:57], v[26:27], s[0:1], -v[56:57]
	v_mul_f64 v[58:59], v[24:25], s[22:23]
	v_add_f64 v[22:23], v[90:91], v[22:23]
	v_add_f64 v[54:55], v[54:55], v[64:65]
	;; [unrolled: 1-line block ×3, first 2 shown]
	v_fma_f64 v[62:63], v[4:5], s[20:21], -v[58:59]
	v_mul_f64 v[64:65], v[12:13], s[22:23]
	v_fmac_f64_e32 v[58:59], s[20:21], v[4:5]
	v_mul_f64 v[24:25], v[24:25], s[30:31]
	v_add_f64 v[22:23], v[80:81], v[22:23]
	v_add_f64 v[62:63], v[62:63], v[68:69]
	v_fma_f64 v[68:69], s[20:21], v[26:27], v[64:65]
	v_add_f64 v[58:59], v[58:59], v[66:67]
	v_fma_f64 v[66:67], v[4:5], s[6:7], -v[24:25]
	v_mul_f64 v[12:13], v[12:13], s[30:31]
	v_fmac_f64_e32 v[24:25], s[6:7], v[4:5]
	v_add_f64 v[22:23], v[68:69], v[22:23]
	v_fma_f64 v[68:69], s[6:7], v[26:27], v[12:13]
	v_add_f64 v[4:5], v[24:25], v[6:7]
	v_fma_f64 v[6:7], v[26:27], s[6:7], -v[12:13]
	v_add_f64 v[12:13], v[14:15], v[18:19]
	v_add_f64 v[14:15], v[14:15], -v[18:19]
	v_add_f64 v[2:3], v[6:7], v[2:3]
	v_add_f64 v[6:7], v[20:21], v[10:11]
	v_mul_f64 v[18:19], v[14:15], s[22:23]
	v_add_f64 v[10:11], v[20:21], -v[10:11]
	v_fma_f64 v[20:21], v[6:7], s[20:21], -v[18:19]
	v_add_f64 v[16:17], v[20:21], v[16:17]
	v_mul_f64 v[20:21], v[10:11], s[22:23]
	v_fma_f64 v[24:25], s[20:21], v[12:13], v[20:21]
	v_fmac_f64_e32 v[18:19], s[20:21], v[6:7]
	v_fma_f64 v[20:21], v[12:13], s[20:21], -v[20:21]
	v_add_f64 v[18:19], v[18:19], v[28:29]
	v_add_f64 v[28:29], v[20:21], v[30:31]
	v_mul_f64 v[20:21], v[14:15], s[28:29]
	v_fma_f64 v[64:65], v[26:27], s[20:21], -v[64:65]
	v_add_f64 v[26:27], v[24:25], v[32:33]
	v_fma_f64 v[24:25], v[6:7], s[0:1], -v[20:21]
	v_mul_f64 v[30:31], v[10:11], s[28:29]
	v_fmac_f64_e32 v[20:21], s[0:1], v[6:7]
	v_fma_f64 v[32:33], s[0:1], v[12:13], v[30:31]
	v_add_f64 v[20:21], v[20:21], v[40:41]
	v_fma_f64 v[30:31], v[12:13], s[0:1], -v[30:31]
	v_mul_f64 v[40:41], v[14:15], s[18:19]
	v_add_f64 v[24:25], v[24:25], v[44:45]
	v_add_f64 v[30:31], v[30:31], v[48:49]
	v_fma_f64 v[44:45], v[6:7], s[16:17], -v[40:41]
	v_mul_f64 v[48:49], v[10:11], s[18:19]
	v_add_f64 v[46:47], v[102:103], v[46:47]
	v_add_f64 v[44:45], v[44:45], v[52:53]
	v_fma_f64 v[52:53], s[16:17], v[12:13], v[48:49]
	v_fmac_f64_e32 v[40:41], s[16:17], v[6:7]
	v_fma_f64 v[48:49], v[12:13], s[16:17], -v[48:49]
	v_add_f64 v[46:47], v[84:85], v[46:47]
	v_add_f64 v[60:61], v[60:61], v[72:73]
	;; [unrolled: 1-line block ×4, first 2 shown]
	v_mul_f64 v[50:51], v[14:15], s[30:31]
	v_mul_f64 v[56:57], v[10:11], s[30:31]
	v_add_f64 v[46:47], v[78:79], v[46:47]
	v_add_f64 v[32:33], v[32:33], v[54:55]
	;; [unrolled: 1-line block ×3, first 2 shown]
	v_fma_f64 v[54:55], v[6:7], s[6:7], -v[50:51]
	v_fma_f64 v[60:61], s[6:7], v[12:13], v[56:57]
	v_fmac_f64_e32 v[50:51], s[6:7], v[6:7]
	v_mul_f64 v[14:15], v[14:15], s[14:15]
	v_mul_f64 v[10:11], v[10:11], s[14:15]
	v_add_f64 v[46:47], v[68:69], v[46:47]
	v_add_f64 v[22:23], v[60:61], v[22:23]
	;; [unrolled: 1-line block ×3, first 2 shown]
	v_fma_f64 v[58:59], v[6:7], s[12:13], -v[14:15]
	v_fma_f64 v[60:61], s[12:13], v[12:13], v[10:11]
	v_fmac_f64_e32 v[14:15], s[12:13], v[6:7]
	v_fma_f64 v[6:7], v[12:13], s[12:13], -v[10:11]
	v_add_f64 v[82:83], v[82:83], v[86:87]
	v_add_f64 v[46:47], v[60:61], v[46:47]
	;; [unrolled: 1-line block ×3, first 2 shown]
	v_mov_b32_e32 v3, 3
	v_add_f64 v[76:77], v[76:77], v[82:83]
	v_mul_u32_u24_e32 v2, 0x370, v34
	v_lshlrev_b32_sdwa v3, v3, v35 dst_sel:DWORD dst_unused:UNUSED_PAD src0_sel:DWORD src1_sel:BYTE_0
	v_add_f64 v[66:67], v[66:67], v[76:77]
	v_add_f64 v[4:5], v[14:15], v[4:5]
	v_add3_u32 v34, 0, v2, v3
	v_add_f64 v[54:55], v[54:55], v[62:63]
	v_fma_f64 v[56:57], v[12:13], s[6:7], -v[56:57]
	v_add_f64 v[58:59], v[58:59], v[66:67]
	ds_write2_b64 v34, v[0:1], v[16:17] offset1:10
	ds_write2_b64 v34, v[24:25], v[44:45] offset0:20 offset1:30
	ds_write2_b64 v34, v[54:55], v[58:59] offset0:40 offset1:50
	;; [unrolled: 1-line block ×4, first 2 shown]
	ds_write_b64 v34, v[18:19] offset:800
	s_waitcnt lgkmcnt(0)
	s_barrier
	ds_read_b64 v[10:11], v93 offset:8800
	ds_read_b64 v[24:25], v93
	ds_read_b64 v[12:13], v94
	;; [unrolled: 1-line block ×5, first 2 shown]
	ds_read_b64 v[20:21], v39 offset:4400
	ds_read2_b64 v[4:7], v42 offset0:20 offset1:130
	ds_read2_b64 v[0:3], v43 offset0:112 offset1:222
	v_add_f64 v[64:65], v[64:65], v[70:71]
	v_add_f64 v[56:57], v[56:57], v[64:65]
	s_waitcnt lgkmcnt(0)
	s_barrier
	ds_write2_b64 v34, v[8:9], v[26:27] offset1:10
	ds_write2_b64 v34, v[32:33], v[52:53] offset0:20 offset1:30
	ds_write2_b64 v34, v[22:23], v[46:47] offset0:40 offset1:50
	;; [unrolled: 1-line block ×4, first 2 shown]
	ds_write_b64 v34, v[28:29] offset:800
	s_waitcnt lgkmcnt(0)
	s_barrier
	s_and_saveexec_b64 s[34:35], vcc
	s_cbranch_execz .LBB0_29
; %bb.28:
	v_mul_u32_u24_e32 v8, 10, v92
	v_lshlrev_b32_e32 v8, 4, v8
	global_load_dwordx4 v[46:49], v8, s[4:5] offset:1792
	global_load_dwordx4 v[50:53], v8, s[4:5] offset:1808
	;; [unrolled: 1-line block ×10, first 2 shown]
	v_add_u32_e32 v28, 0x1400, v93
	v_add_u32_e32 v29, 0x1800, v93
	ds_read_b64 v[8:9], v39 offset:4400
	ds_read_b64 v[22:23], v38
	ds_read_b64 v[96:97], v37
	;; [unrolled: 1-line block ×5, first 2 shown]
	ds_read_b64 v[102:103], v93 offset:8800
	ds_read2_b64 v[88:91], v28 offset0:20 offset1:130
	ds_read2_b64 v[92:95], v29 offset0:112 offset1:222
	s_mov_b32 s5, 0x3fe82f19
	s_mov_b32 s4, s18
	s_waitcnt vmcnt(9)
	v_mul_f64 v[28:29], v[20:21], v[48:49]
	s_waitcnt vmcnt(8)
	v_mul_f64 v[30:31], v[4:5], v[52:53]
	;; [unrolled: 2-line block ×3, first 2 shown]
	s_waitcnt lgkmcnt(7)
	v_mul_f64 v[104:105], v[22:23], v[56:57]
	v_mul_f64 v[48:49], v[8:9], v[48:49]
	s_waitcnt lgkmcnt(1)
	v_mul_f64 v[52:53], v[88:89], v[52:53]
	s_waitcnt vmcnt(6)
	v_mul_f64 v[32:33], v[6:7], v[60:61]
	v_mul_f64 v[60:61], v[90:91], v[60:61]
	s_waitcnt vmcnt(1)
	v_mul_f64 v[56:57], v[12:13], v[82:83]
	s_waitcnt vmcnt(0)
	v_mul_f64 v[44:45], v[10:11], v[86:87]
	v_mul_f64 v[40:41], v[16:17], v[64:65]
	;; [unrolled: 1-line block ×4, first 2 shown]
	s_waitcnt lgkmcnt(0)
	v_mul_f64 v[68:69], v[92:93], v[68:69]
	v_mul_f64 v[42:43], v[14:15], v[72:73]
	;; [unrolled: 1-line block ×5, first 2 shown]
	v_fmac_f64_e32 v[56:57], v[100:101], v[80:81]
	v_fmac_f64_e32 v[44:45], v[102:103], v[84:85]
	v_mul_f64 v[72:73], v[98:99], v[72:73]
	v_mul_f64 v[78:79], v[94:95], v[78:79]
	v_fmac_f64_e32 v[28:29], v[8:9], v[46:47]
	v_fma_f64 v[46:47], v[20:21], v[46:47], -v[48:49]
	v_fmac_f64_e32 v[30:31], v[88:89], v[50:51]
	v_fma_f64 v[48:49], v[4:5], v[50:51], -v[52:53]
	;; [unrolled: 2-line block ×3, first 2 shown]
	v_fma_f64 v[50:51], v[6:7], v[58:59], -v[60:61]
	v_fmac_f64_e32 v[40:41], v[96:97], v[62:63]
	v_fmac_f64_e32 v[36:37], v[92:93], v[66:67]
	v_fma_f64 v[60:61], v[16:17], v[62:63], -v[64:65]
	v_fma_f64 v[54:55], v[0:1], v[66:67], -v[68:69]
	v_fmac_f64_e32 v[42:43], v[98:99], v[70:71]
	v_fmac_f64_e32 v[38:39], v[94:95], v[76:77]
	v_fma_f64 v[66:67], v[12:13], v[80:81], -v[82:83]
	v_fma_f64 v[62:63], v[10:11], v[84:85], -v[86:87]
	v_add_f64 v[100:101], v[56:57], v[44:45]
	v_fmac_f64_e32 v[32:33], v[90:91], v[58:59]
	v_fma_f64 v[64:65], v[14:15], v[70:71], -v[72:73]
	v_fma_f64 v[58:59], v[2:3], v[76:77], -v[78:79]
	v_add_f64 v[98:99], v[42:43], v[38:39]
	v_add_f64 v[78:79], v[66:67], -v[62:63]
	v_mul_f64 v[12:13], v[100:101], s[20:21]
	v_add_f64 v[96:97], v[40:41], v[36:37]
	v_add_f64 v[76:77], v[64:65], -v[58:59]
	v_mul_f64 v[10:11], v[98:99], s[0:1]
	v_fma_f64 v[18:19], s[24:25], v[78:79], v[12:13]
	v_add_f64 v[108:109], v[56:57], -v[44:45]
	v_fmac_f64_e32 v[12:13], s[22:23], v[78:79]
	v_add_f64 v[94:95], v[34:35], v[32:33]
	v_add_f64 v[72:73], v[60:61], -v[54:55]
	v_mul_f64 v[8:9], v[96:97], s[16:17]
	v_fma_f64 v[16:17], s[2:3], v[76:77], v[10:11]
	v_add_f64 v[18:19], v[26:27], v[18:19]
	v_add_f64 v[106:107], v[42:43], -v[38:39]
	v_add_f64 v[92:93], v[66:67], v[62:63]
	v_mul_f64 v[112:113], v[108:109], s[22:23]
	v_fmac_f64_e32 v[10:11], s[28:29], v[76:77]
	v_add_f64 v[12:13], v[26:27], v[12:13]
	v_add_f64 v[82:83], v[28:29], v[30:31]
	v_add_f64 v[70:71], v[52:53], -v[50:51]
	v_mul_f64 v[6:7], v[94:95], s[6:7]
	v_fma_f64 v[14:15], s[4:5], v[72:73], v[8:9]
	v_add_f64 v[16:17], v[16:17], v[18:19]
	v_add_f64 v[104:105], v[40:41], -v[36:37]
	v_add_f64 v[90:91], v[64:65], v[58:59]
	v_mul_f64 v[20:21], v[106:107], s[28:29]
	v_fma_f64 v[114:115], s[20:21], v[92:93], v[112:113]
	v_fmac_f64_e32 v[8:9], s[18:19], v[72:73]
	v_add_f64 v[10:11], v[10:11], v[12:13]
	v_add_f64 v[68:69], v[46:47], -v[48:49]
	v_add_f64 v[88:89], v[28:29], -v[30:31]
	v_mul_f64 v[4:5], v[82:83], s[12:13]
	v_fma_f64 v[2:3], s[10:11], v[70:71], v[6:7]
	v_add_f64 v[14:15], v[14:15], v[16:17]
	v_add_f64 v[102:103], v[34:35], -v[32:33]
	v_add_f64 v[86:87], v[60:61], v[54:55]
	v_mul_f64 v[18:19], v[104:105], s[18:19]
	v_fma_f64 v[22:23], s[0:1], v[90:91], v[20:21]
	v_add_f64 v[114:115], v[24:25], v[114:115]
	v_fmac_f64_e32 v[6:7], s[30:31], v[70:71]
	v_add_f64 v[8:9], v[8:9], v[10:11]
	v_add_f64 v[80:81], v[46:47], v[48:49]
	v_fma_f64 v[0:1], s[26:27], v[68:69], v[4:5]
	v_add_f64 v[2:3], v[2:3], v[14:15]
	v_mul_f64 v[14:15], v[88:89], s[14:15]
	v_add_f64 v[84:85], v[52:53], v[50:51]
	v_mul_f64 v[16:17], v[102:103], s[30:31]
	v_add_f64 v[22:23], v[22:23], v[114:115]
	v_fma_f64 v[114:115], s[16:17], v[86:87], v[18:19]
	v_fmac_f64_e32 v[4:5], s[14:15], v[68:69]
	v_add_f64 v[6:7], v[6:7], v[8:9]
	v_add_f64 v[2:3], v[0:1], v[2:3]
	v_fma_f64 v[0:1], s[12:13], v[80:81], v[14:15]
	v_add_f64 v[22:23], v[114:115], v[22:23]
	v_fma_f64 v[114:115], s[6:7], v[84:85], v[16:17]
	v_add_f64 v[6:7], v[4:5], v[6:7]
	v_fma_f64 v[4:5], v[80:81], s[12:13], -v[14:15]
	v_fma_f64 v[14:15], v[92:93], s[20:21], -v[112:113]
	v_add_f64 v[22:23], v[114:115], v[22:23]
	v_fma_f64 v[12:13], v[90:91], s[0:1], -v[20:21]
	v_add_f64 v[14:15], v[24:25], v[14:15]
	v_mul_f64 v[20:21], v[100:101], s[16:17]
	v_add_f64 v[0:1], v[0:1], v[22:23]
	v_fma_f64 v[8:9], v[84:85], s[6:7], -v[16:17]
	v_fma_f64 v[10:11], v[86:87], s[16:17], -v[18:19]
	v_add_f64 v[12:13], v[12:13], v[14:15]
	v_mul_f64 v[16:17], v[98:99], s[12:13]
	v_fma_f64 v[22:23], s[4:5], v[78:79], v[20:21]
	v_add_f64 v[10:11], v[10:11], v[12:13]
	v_mul_f64 v[14:15], v[96:97], s[0:1]
	v_fma_f64 v[18:19], s[14:15], v[76:77], v[16:17]
	v_add_f64 v[22:23], v[26:27], v[22:23]
	v_add_f64 v[8:9], v[8:9], v[10:11]
	v_mul_f64 v[12:13], v[94:95], s[20:21]
	v_fma_f64 v[10:11], s[28:29], v[72:73], v[14:15]
	v_add_f64 v[18:19], v[18:19], v[22:23]
	v_mul_f64 v[114:115], v[108:109], s[18:19]
	v_add_f64 v[4:5], v[4:5], v[8:9]
	v_fma_f64 v[8:9], s[24:25], v[70:71], v[12:13]
	v_add_f64 v[10:11], v[10:11], v[18:19]
	v_mul_f64 v[112:113], v[106:107], s[26:27]
	v_fma_f64 v[116:117], s[16:17], v[92:93], v[114:115]
	v_fmac_f64_e32 v[20:21], s[18:19], v[78:79]
	v_add_f64 v[8:9], v[8:9], v[10:11]
	v_mul_f64 v[22:23], v[104:105], s[2:3]
	v_fma_f64 v[10:11], s[12:13], v[90:91], v[112:113]
	v_add_f64 v[116:117], v[24:25], v[116:117]
	v_fmac_f64_e32 v[16:17], s[26:27], v[76:77]
	v_add_f64 v[20:21], v[26:27], v[20:21]
	v_mul_f64 v[18:19], v[102:103], s[22:23]
	v_add_f64 v[10:11], v[10:11], v[116:117]
	v_fma_f64 v[116:117], s[0:1], v[86:87], v[22:23]
	v_add_f64 v[16:17], v[16:17], v[20:21]
	v_fmac_f64_e32 v[14:15], s[2:3], v[72:73]
	v_add_f64 v[10:11], v[116:117], v[10:11]
	v_fma_f64 v[116:117], s[20:21], v[84:85], v[18:19]
	v_mul_f64 v[118:119], v[82:83], s[6:7]
	v_add_f64 v[14:15], v[14:15], v[16:17]
	v_fma_f64 v[16:17], v[84:85], s[20:21], -v[18:19]
	v_fma_f64 v[18:19], v[86:87], s[0:1], -v[22:23]
	;; [unrolled: 1-line block ×3, first 2 shown]
	v_add_f64 v[116:117], v[116:117], v[10:11]
	v_fma_f64 v[10:11], s[10:11], v[68:69], v[118:119]
	v_mul_f64 v[120:121], v[88:89], s[30:31]
	v_fma_f64 v[20:21], v[90:91], s[12:13], -v[112:113]
	v_add_f64 v[22:23], v[24:25], v[22:23]
	v_add_f64 v[10:11], v[10:11], v[8:9]
	v_fma_f64 v[8:9], s[6:7], v[80:81], v[120:121]
	v_add_f64 v[20:21], v[20:21], v[22:23]
	v_mul_f64 v[114:115], v[100:101], s[12:13]
	v_add_f64 v[8:9], v[8:9], v[116:117]
	v_fmac_f64_e32 v[12:13], s[22:23], v[70:71]
	v_add_f64 v[18:19], v[18:19], v[20:21]
	v_mul_f64 v[112:113], v[98:99], s[20:21]
	v_fma_f64 v[116:117], s[26:27], v[78:79], v[114:115]
	v_fmac_f64_e32 v[118:119], s[30:31], v[68:69]
	v_add_f64 v[12:13], v[12:13], v[14:15]
	v_add_f64 v[16:17], v[16:17], v[18:19]
	v_mul_f64 v[22:23], v[96:97], s[6:7]
	v_fma_f64 v[18:19], s[22:23], v[76:77], v[112:113]
	v_add_f64 v[116:117], v[26:27], v[116:117]
	v_add_f64 v[14:15], v[118:119], v[12:13]
	v_fma_f64 v[12:13], v[80:81], s[6:7], -v[120:121]
	v_mul_f64 v[20:21], v[94:95], s[0:1]
	v_add_f64 v[18:19], v[18:19], v[116:117]
	v_fma_f64 v[116:117], s[10:11], v[72:73], v[22:23]
	v_add_f64 v[12:13], v[12:13], v[16:17]
	v_fma_f64 v[16:17], s[28:29], v[70:71], v[20:21]
	v_add_f64 v[18:19], v[116:117], v[18:19]
	v_mul_f64 v[116:117], v[108:109], s[14:15]
	v_add_f64 v[16:17], v[16:17], v[18:19]
	v_fma_f64 v[18:19], s[12:13], v[92:93], v[116:117]
	v_mul_f64 v[118:119], v[106:107], s[24:25]
	v_fmac_f64_e32 v[114:115], s[14:15], v[78:79]
	v_add_f64 v[18:19], v[24:25], v[18:19]
	v_fma_f64 v[120:121], s[20:21], v[90:91], v[118:119]
	v_fmac_f64_e32 v[112:113], s[24:25], v[76:77]
	v_add_f64 v[114:115], v[26:27], v[114:115]
	v_add_f64 v[18:19], v[120:121], v[18:19]
	v_mul_f64 v[120:121], v[104:105], s[30:31]
	v_add_f64 v[112:113], v[112:113], v[114:115]
	v_fmac_f64_e32 v[22:23], s[30:31], v[72:73]
	v_fma_f64 v[122:123], s[6:7], v[86:87], v[120:121]
	v_add_f64 v[22:23], v[22:23], v[112:113]
	v_fmac_f64_e32 v[20:21], s[2:3], v[70:71]
	v_fma_f64 v[112:113], v[92:93], s[12:13], -v[116:117]
	v_add_f64 v[18:19], v[122:123], v[18:19]
	v_mul_f64 v[122:123], v[102:103], s[2:3]
	v_add_f64 v[20:21], v[20:21], v[22:23]
	v_fma_f64 v[22:23], v[90:91], s[20:21], -v[118:119]
	v_add_f64 v[112:113], v[24:25], v[112:113]
	v_fma_f64 v[124:125], s[0:1], v[84:85], v[122:123]
	v_mul_f64 v[126:127], v[82:83], s[16:17]
	v_add_f64 v[22:23], v[22:23], v[112:113]
	v_fma_f64 v[112:113], v[86:87], s[6:7], -v[120:121]
	v_add_f64 v[124:125], v[124:125], v[18:19]
	v_fma_f64 v[18:19], s[4:5], v[68:69], v[126:127]
	v_mul_f64 v[128:129], v[88:89], s[18:19]
	v_add_f64 v[22:23], v[112:113], v[22:23]
	v_fmac_f64_e32 v[126:127], s[18:19], v[68:69]
	v_fma_f64 v[112:113], v[84:85], s[0:1], -v[122:123]
	v_add_f64 v[114:115], v[126:127], v[20:21]
	v_fma_f64 v[20:21], v[80:81], s[16:17], -v[128:129]
	v_add_f64 v[22:23], v[112:113], v[22:23]
	v_mul_f64 v[118:119], v[100:101], s[6:7]
	v_add_f64 v[112:113], v[20:21], v[22:23]
	v_mul_f64 v[116:117], v[98:99], s[16:17]
	v_fma_f64 v[20:21], s[30:31], v[78:79], v[118:119]
	v_add_f64 v[20:21], v[26:27], v[20:21]
	v_fma_f64 v[22:23], s[4:5], v[76:77], v[116:117]
	v_mul_f64 v[120:121], v[96:97], s[20:21]
	v_add_f64 v[18:19], v[18:19], v[16:17]
	v_fma_f64 v[16:17], s[16:17], v[80:81], v[128:129]
	v_add_f64 v[20:21], v[22:23], v[20:21]
	v_fma_f64 v[22:23], s[22:23], v[72:73], v[120:121]
	v_mul_f64 v[122:123], v[94:95], s[12:13]
	v_add_f64 v[16:17], v[16:17], v[124:125]
	v_add_f64 v[20:21], v[22:23], v[20:21]
	v_fma_f64 v[22:23], s[14:15], v[70:71], v[122:123]
	v_mul_f64 v[124:125], v[108:109], s[10:11]
	v_add_f64 v[20:21], v[22:23], v[20:21]
	v_fma_f64 v[22:23], s[6:7], v[92:93], v[124:125]
	v_mul_f64 v[126:127], v[106:107], s[18:19]
	v_fmac_f64_e32 v[118:119], s[10:11], v[78:79]
	v_add_f64 v[22:23], v[24:25], v[22:23]
	v_fma_f64 v[128:129], s[16:17], v[90:91], v[126:127]
	v_fmac_f64_e32 v[116:117], s[18:19], v[76:77]
	v_add_f64 v[118:119], v[26:27], v[118:119]
	v_add_f64 v[22:23], v[128:129], v[22:23]
	v_mul_f64 v[128:129], v[104:105], s[24:25]
	v_add_f64 v[116:117], v[116:117], v[118:119]
	v_fmac_f64_e32 v[120:121], s[24:25], v[72:73]
	v_fma_f64 v[130:131], s[20:21], v[86:87], v[128:129]
	v_add_f64 v[116:117], v[120:121], v[116:117]
	v_fma_f64 v[120:121], v[92:93], s[6:7], -v[124:125]
	v_add_f64 v[22:23], v[130:131], v[22:23]
	v_mul_f64 v[130:131], v[102:103], s[26:27]
	v_fma_f64 v[118:119], v[90:91], s[16:17], -v[126:127]
	v_add_f64 v[120:121], v[24:25], v[120:121]
	v_fma_f64 v[132:133], s[12:13], v[84:85], v[130:131]
	v_mul_f64 v[134:135], v[82:83], s[0:1]
	v_fmac_f64_e32 v[122:123], s[26:27], v[70:71]
	v_add_f64 v[118:119], v[118:119], v[120:121]
	v_fma_f64 v[120:121], v[86:87], s[20:21], -v[128:129]
	v_add_f64 v[132:133], v[132:133], v[22:23]
	v_fma_f64 v[22:23], s[2:3], v[68:69], v[134:135]
	v_mul_f64 v[136:137], v[88:89], s[28:29]
	v_add_f64 v[116:117], v[122:123], v[116:117]
	v_add_f64 v[118:119], v[120:121], v[118:119]
	v_fma_f64 v[120:121], v[84:85], s[12:13], -v[130:131]
	v_fmac_f64_e32 v[134:135], s[28:29], v[68:69]
	v_add_f64 v[120:121], v[120:121], v[118:119]
	v_add_f64 v[118:119], v[134:135], v[116:117]
	v_fma_f64 v[116:117], v[80:81], s[0:1], -v[136:137]
	v_mul_f64 v[100:101], v[100:101], s[0:1]
	v_add_f64 v[116:117], v[116:117], v[120:121]
	v_mul_f64 v[98:99], v[98:99], s[6:7]
	v_fma_f64 v[120:121], s[28:29], v[78:79], v[100:101]
	v_add_f64 v[120:121], v[26:27], v[120:121]
	v_fma_f64 v[122:123], s[30:31], v[76:77], v[98:99]
	v_add_f64 v[120:121], v[122:123], v[120:121]
	v_mul_f64 v[122:123], v[96:97], s[12:13]
	v_fma_f64 v[96:97], s[26:27], v[72:73], v[122:123]
	v_add_f64 v[96:97], v[96:97], v[120:121]
	v_mul_f64 v[120:121], v[94:95], s[16:17]
	v_fma_f64 v[94:95], s[4:5], v[70:71], v[120:121]
	v_mul_f64 v[108:109], v[108:109], s[2:3]
	v_add_f64 v[94:95], v[94:95], v[96:97]
	v_mul_f64 v[106:107], v[106:107], s[10:11]
	v_fma_f64 v[96:97], s[0:1], v[92:93], v[108:109]
	v_add_f64 v[96:97], v[24:25], v[96:97]
	v_fma_f64 v[124:125], s[6:7], v[90:91], v[106:107]
	v_mul_f64 v[104:105], v[104:105], s[14:15]
	v_add_f64 v[96:97], v[124:125], v[96:97]
	v_fma_f64 v[124:125], s[12:13], v[86:87], v[104:105]
	v_mul_f64 v[102:103], v[102:103], s[18:19]
	;; [unrolled: 3-line block ×3, first 2 shown]
	v_fmac_f64_e32 v[100:101], s[2:3], v[78:79]
	v_add_f64 v[124:125], v[124:125], v[96:97]
	v_fma_f64 v[96:97], s[24:25], v[68:69], v[82:83]
	v_fmac_f64_e32 v[82:83], s[22:23], v[68:69]
	v_fmac_f64_e32 v[98:99], s[10:11], v[76:77]
	v_add_f64 v[68:69], v[26:27], v[100:101]
	v_fmac_f64_e32 v[122:123], s[14:15], v[72:73]
	v_add_f64 v[68:69], v[98:99], v[68:69]
	;; [unrolled: 2-line block ×3, first 2 shown]
	v_mul_f64 v[88:89], v[88:89], s[22:23]
	v_add_f64 v[68:69], v[120:121], v[68:69]
	v_add_f64 v[22:23], v[22:23], v[20:21]
	v_fma_f64 v[20:21], s[0:1], v[80:81], v[136:137]
	v_add_f64 v[96:97], v[96:97], v[94:95]
	v_fma_f64 v[94:95], s[20:21], v[80:81], v[88:89]
	v_add_f64 v[70:71], v[82:83], v[68:69]
	v_fma_f64 v[68:69], v[80:81], s[20:21], -v[88:89]
	v_fma_f64 v[80:81], v[92:93], s[0:1], -v[108:109]
	v_add_f64 v[80:81], v[24:25], v[80:81]
	v_add_f64 v[26:27], v[26:27], v[56:57]
	;; [unrolled: 1-line block ×13, first 2 shown]
	v_mad_u64_u32 v[28:29], s[0:1], s8, v110, 0
	v_add_f64 v[26:27], v[32:33], v[26:27]
	v_add_f64 v[24:25], v[50:51], v[24:25]
	v_mov_b32_e32 v30, v29
	v_add_f64 v[26:27], v[36:37], v[26:27]
	v_add_f64 v[24:25], v[54:55], v[24:25]
	v_mad_u64_u32 v[30:31], s[0:1], s9, v110, v[30:31]
	v_add_f64 v[26:27], v[38:39], v[26:27]
	v_add_f64 v[24:25], v[58:59], v[24:25]
	v_mov_b32_e32 v29, v30
	v_add_f64 v[26:27], v[44:45], v[26:27]
	v_add_f64 v[24:25], v[62:63], v[24:25]
	v_lshl_add_u64 v[28:29], v[28:29], 4, v[74:75]
	global_store_dwordx4 v[28:29], v[24:27], off
	v_fma_f64 v[78:79], v[90:91], s[6:7], -v[106:107]
	v_fma_f64 v[76:77], v[86:87], s[12:13], -v[104:105]
	v_add_u32_e32 v27, 0x6e, v110
	v_mad_u64_u32 v[24:25], s[0:1], s8, v27, 0
	v_add_f64 v[78:79], v[78:79], v[80:81]
	v_mov_b32_e32 v26, v25
	v_fma_f64 v[72:73], v[84:85], s[16:17], -v[102:103]
	v_add_f64 v[76:77], v[76:77], v[78:79]
	v_mad_u64_u32 v[26:27], s[0:1], s9, v27, v[26:27]
	v_add_f64 v[72:73], v[72:73], v[76:77]
	v_mov_b32_e32 v25, v26
	v_add_f64 v[68:69], v[68:69], v[72:73]
	v_lshl_add_u64 v[24:25], v[24:25], 4, v[74:75]
	v_add_u32_e32 v27, 0xdc, v110
	global_store_dwordx4 v[24:25], v[68:71], off
	v_mad_u64_u32 v[24:25], s[0:1], s8, v27, 0
	v_mov_b32_e32 v26, v25
	v_mad_u64_u32 v[26:27], s[0:1], s9, v27, v[26:27]
	v_mov_b32_e32 v25, v26
	v_lshl_add_u64 v[24:25], v[24:25], 4, v[74:75]
	v_add_u32_e32 v27, 0x14a, v110
	global_store_dwordx4 v[24:25], v[116:119], off
	v_mad_u64_u32 v[24:25], s[0:1], s8, v27, 0
	v_mov_b32_e32 v26, v25
	v_mad_u64_u32 v[26:27], s[0:1], s9, v27, v[26:27]
	v_mov_b32_e32 v25, v26
	v_lshl_add_u64 v[24:25], v[24:25], 4, v[74:75]
	v_add_u32_e32 v27, 0x1b8, v110
	global_store_dwordx4 v[24:25], v[112:115], off
	v_mad_u64_u32 v[24:25], s[0:1], s8, v27, 0
	v_mov_b32_e32 v26, v25
	v_mad_u64_u32 v[26:27], s[0:1], s9, v27, v[26:27]
	v_mov_b32_e32 v25, v26
	v_lshl_add_u64 v[24:25], v[24:25], 4, v[74:75]
	global_store_dwordx4 v[24:25], v[12:15], off
	v_add_f64 v[20:21], v[20:21], v[132:133]
	v_add_f64 v[94:95], v[94:95], v[124:125]
	v_add_u32_e32 v15, 0x226, v110
	v_mad_u64_u32 v[12:13], s[0:1], s8, v15, 0
	v_mov_b32_e32 v14, v13
	v_mad_u64_u32 v[14:15], s[0:1], s9, v15, v[14:15]
	v_mov_b32_e32 v13, v14
	v_lshl_add_u64 v[12:13], v[12:13], 4, v[74:75]
	global_store_dwordx4 v[12:13], v[4:7], off
	s_nop 1
	v_add_u32_e32 v7, 0x294, v110
	v_mad_u64_u32 v[4:5], s[0:1], s8, v7, 0
	v_mov_b32_e32 v6, v5
	v_mad_u64_u32 v[6:7], s[0:1], s9, v7, v[6:7]
	v_mov_b32_e32 v5, v6
	v_lshl_add_u64 v[4:5], v[4:5], 4, v[74:75]
	global_store_dwordx4 v[4:5], v[0:3], off
	s_nop 1
	v_add_u32_e32 v3, 0x302, v110
	v_mad_u64_u32 v[0:1], s[0:1], s8, v3, 0
	v_mov_b32_e32 v2, v1
	v_mad_u64_u32 v[2:3], s[0:1], s9, v3, v[2:3]
	v_mov_b32_e32 v1, v2
	v_lshl_add_u64 v[0:1], v[0:1], 4, v[74:75]
	v_add_u32_e32 v3, 0x370, v110
	global_store_dwordx4 v[0:1], v[8:11], off
	v_mad_u64_u32 v[0:1], s[0:1], s8, v3, 0
	v_mov_b32_e32 v2, v1
	v_mad_u64_u32 v[2:3], s[0:1], s9, v3, v[2:3]
	v_mov_b32_e32 v1, v2
	v_lshl_add_u64 v[0:1], v[0:1], 4, v[74:75]
	v_add_u32_e32 v3, 0x3de, v110
	global_store_dwordx4 v[0:1], v[16:19], off
	;; [unrolled: 7-line block ×3, first 2 shown]
	v_mad_u64_u32 v[0:1], s[0:1], s8, v3, 0
	v_mov_b32_e32 v2, v1
	v_mad_u64_u32 v[2:3], s[0:1], s9, v3, v[2:3]
	v_mov_b32_e32 v1, v2
	v_lshl_add_u64 v[0:1], v[0:1], 4, v[74:75]
	global_store_dwordx4 v[0:1], v[94:97], off
.LBB0_29:
	s_endpgm
	.section	.rodata,"a",@progbits
	.p2align	6, 0x0
	.amdhsa_kernel fft_rtc_fwd_len1210_factors_2_5_11_11_wgs_110_tpt_110_halfLds_dp_ip_CI_sbrr_dirReg
		.amdhsa_group_segment_fixed_size 0
		.amdhsa_private_segment_fixed_size 0
		.amdhsa_kernarg_size 88
		.amdhsa_user_sgpr_count 2
		.amdhsa_user_sgpr_dispatch_ptr 0
		.amdhsa_user_sgpr_queue_ptr 0
		.amdhsa_user_sgpr_kernarg_segment_ptr 1
		.amdhsa_user_sgpr_dispatch_id 0
		.amdhsa_user_sgpr_kernarg_preload_length 0
		.amdhsa_user_sgpr_kernarg_preload_offset 0
		.amdhsa_user_sgpr_private_segment_size 0
		.amdhsa_uses_dynamic_stack 0
		.amdhsa_enable_private_segment 0
		.amdhsa_system_sgpr_workgroup_id_x 1
		.amdhsa_system_sgpr_workgroup_id_y 0
		.amdhsa_system_sgpr_workgroup_id_z 0
		.amdhsa_system_sgpr_workgroup_info 0
		.amdhsa_system_vgpr_workitem_id 0
		.amdhsa_next_free_vgpr 138
		.amdhsa_next_free_sgpr 36
		.amdhsa_accum_offset 140
		.amdhsa_reserve_vcc 1
		.amdhsa_float_round_mode_32 0
		.amdhsa_float_round_mode_16_64 0
		.amdhsa_float_denorm_mode_32 3
		.amdhsa_float_denorm_mode_16_64 3
		.amdhsa_dx10_clamp 1
		.amdhsa_ieee_mode 1
		.amdhsa_fp16_overflow 0
		.amdhsa_tg_split 0
		.amdhsa_exception_fp_ieee_invalid_op 0
		.amdhsa_exception_fp_denorm_src 0
		.amdhsa_exception_fp_ieee_div_zero 0
		.amdhsa_exception_fp_ieee_overflow 0
		.amdhsa_exception_fp_ieee_underflow 0
		.amdhsa_exception_fp_ieee_inexact 0
		.amdhsa_exception_int_div_zero 0
	.end_amdhsa_kernel
	.text
.Lfunc_end0:
	.size	fft_rtc_fwd_len1210_factors_2_5_11_11_wgs_110_tpt_110_halfLds_dp_ip_CI_sbrr_dirReg, .Lfunc_end0-fft_rtc_fwd_len1210_factors_2_5_11_11_wgs_110_tpt_110_halfLds_dp_ip_CI_sbrr_dirReg
                                        ; -- End function
	.section	.AMDGPU.csdata,"",@progbits
; Kernel info:
; codeLenInByte = 11036
; NumSgprs: 42
; NumVgprs: 138
; NumAgprs: 0
; TotalNumVgprs: 138
; ScratchSize: 0
; MemoryBound: 1
; FloatMode: 240
; IeeeMode: 1
; LDSByteSize: 0 bytes/workgroup (compile time only)
; SGPRBlocks: 5
; VGPRBlocks: 17
; NumSGPRsForWavesPerEU: 42
; NumVGPRsForWavesPerEU: 138
; AccumOffset: 140
; Occupancy: 3
; WaveLimiterHint : 1
; COMPUTE_PGM_RSRC2:SCRATCH_EN: 0
; COMPUTE_PGM_RSRC2:USER_SGPR: 2
; COMPUTE_PGM_RSRC2:TRAP_HANDLER: 0
; COMPUTE_PGM_RSRC2:TGID_X_EN: 1
; COMPUTE_PGM_RSRC2:TGID_Y_EN: 0
; COMPUTE_PGM_RSRC2:TGID_Z_EN: 0
; COMPUTE_PGM_RSRC2:TIDIG_COMP_CNT: 0
; COMPUTE_PGM_RSRC3_GFX90A:ACCUM_OFFSET: 34
; COMPUTE_PGM_RSRC3_GFX90A:TG_SPLIT: 0
	.text
	.p2alignl 6, 3212836864
	.fill 256, 4, 3212836864
	.type	__hip_cuid_e809f0f0cf9f8708,@object ; @__hip_cuid_e809f0f0cf9f8708
	.section	.bss,"aw",@nobits
	.globl	__hip_cuid_e809f0f0cf9f8708
__hip_cuid_e809f0f0cf9f8708:
	.byte	0                               ; 0x0
	.size	__hip_cuid_e809f0f0cf9f8708, 1

	.ident	"AMD clang version 19.0.0git (https://github.com/RadeonOpenCompute/llvm-project roc-6.4.0 25133 c7fe45cf4b819c5991fe208aaa96edf142730f1d)"
	.section	".note.GNU-stack","",@progbits
	.addrsig
	.addrsig_sym __hip_cuid_e809f0f0cf9f8708
	.amdgpu_metadata
---
amdhsa.kernels:
  - .agpr_count:     0
    .args:
      - .actual_access:  read_only
        .address_space:  global
        .offset:         0
        .size:           8
        .value_kind:     global_buffer
      - .offset:         8
        .size:           8
        .value_kind:     by_value
      - .actual_access:  read_only
        .address_space:  global
        .offset:         16
        .size:           8
        .value_kind:     global_buffer
      - .actual_access:  read_only
        .address_space:  global
        .offset:         24
        .size:           8
        .value_kind:     global_buffer
      - .offset:         32
        .size:           8
        .value_kind:     by_value
      - .actual_access:  read_only
        .address_space:  global
        .offset:         40
        .size:           8
        .value_kind:     global_buffer
      - .actual_access:  read_only
        .address_space:  global
        .offset:         48
        .size:           8
        .value_kind:     global_buffer
      - .offset:         56
        .size:           4
        .value_kind:     by_value
      - .actual_access:  read_only
        .address_space:  global
        .offset:         64
        .size:           8
        .value_kind:     global_buffer
      - .actual_access:  read_only
        .address_space:  global
        .offset:         72
        .size:           8
        .value_kind:     global_buffer
      - .address_space:  global
        .offset:         80
        .size:           8
        .value_kind:     global_buffer
    .group_segment_fixed_size: 0
    .kernarg_segment_align: 8
    .kernarg_segment_size: 88
    .language:       OpenCL C
    .language_version:
      - 2
      - 0
    .max_flat_workgroup_size: 110
    .name:           fft_rtc_fwd_len1210_factors_2_5_11_11_wgs_110_tpt_110_halfLds_dp_ip_CI_sbrr_dirReg
    .private_segment_fixed_size: 0
    .sgpr_count:     42
    .sgpr_spill_count: 0
    .symbol:         fft_rtc_fwd_len1210_factors_2_5_11_11_wgs_110_tpt_110_halfLds_dp_ip_CI_sbrr_dirReg.kd
    .uniform_work_group_size: 1
    .uses_dynamic_stack: false
    .vgpr_count:     138
    .vgpr_spill_count: 0
    .wavefront_size: 64
amdhsa.target:   amdgcn-amd-amdhsa--gfx950
amdhsa.version:
  - 1
  - 2
...

	.end_amdgpu_metadata
